;; amdgpu-corpus repo=ROCm/rocFFT kind=compiled arch=gfx906 opt=O3
	.text
	.amdgcn_target "amdgcn-amd-amdhsa--gfx906"
	.amdhsa_code_object_version 6
	.protected	bluestein_single_back_len1323_dim1_half_op_CI_CI ; -- Begin function bluestein_single_back_len1323_dim1_half_op_CI_CI
	.globl	bluestein_single_back_len1323_dim1_half_op_CI_CI
	.p2align	8
	.type	bluestein_single_back_len1323_dim1_half_op_CI_CI,@function
bluestein_single_back_len1323_dim1_half_op_CI_CI: ; @bluestein_single_back_len1323_dim1_half_op_CI_CI
; %bb.0:
	s_load_dwordx4 s[8:11], s[4:5], 0x28
	v_mul_u32_u24_e32 v1, 0x15b, v0
	v_add_u32_sdwa v10, s6, v1 dst_sel:DWORD dst_unused:UNUSED_PAD src0_sel:DWORD src1_sel:WORD_1
	v_mov_b32_e32 v11, 0
	s_waitcnt lgkmcnt(0)
	v_cmp_gt_u64_e32 vcc, s[8:9], v[10:11]
	s_and_saveexec_b64 s[0:1], vcc
	s_cbranch_execz .LBB0_31
; %bb.1:
	s_load_dwordx4 s[12:15], s[4:5], 0x18
	s_load_dwordx2 s[16:17], s[4:5], 0x0
	s_movk_i32 s6, 0xbd
	v_mul_lo_u16_sdwa v1, v1, s6 dst_sel:DWORD dst_unused:UNUSED_PAD src0_sel:WORD_1 src1_sel:DWORD
	v_sub_u16_e32 v39, v0, v1
	s_waitcnt lgkmcnt(0)
	s_load_dwordx4 s[0:3], s[12:13], 0x0
	v_lshlrev_b32_e32 v33, 2, v39
	global_load_dword v40, v33, s[16:17]
	global_load_dword v38, v33, s[16:17] offset:1764
	s_waitcnt lgkmcnt(0)
	v_mad_u64_u32 v[0:1], s[6:7], s2, v10, 0
	v_mad_u64_u32 v[2:3], s[6:7], s0, v39, 0
	;; [unrolled: 1-line block ×4, first 2 shown]
	v_mov_b32_e32 v1, v4
	v_lshlrev_b64 v[0:1], 2, v[0:1]
	v_mov_b32_e32 v6, s11
	v_mov_b32_e32 v3, v5
	v_add_co_u32_e32 v4, vcc, s10, v0
	v_addc_co_u32_e32 v5, vcc, v6, v1, vcc
	v_lshlrev_b64 v[0:1], 2, v[2:3]
	s_mul_i32 s2, s1, 0x1b9
	s_mul_hi_u32 s3, s0, 0x1b9
	v_add_co_u32_e32 v0, vcc, v4, v0
	s_add_i32 s3, s3, s2
	s_mul_i32 s2, s0, 0x1b9
	v_addc_co_u32_e32 v1, vcc, v5, v1, vcc
	s_lshl_b64 s[12:13], s[2:3], 2
	v_mov_b32_e32 v7, s13
	v_add_co_u32_e32 v2, vcc, s12, v0
	s_mul_hi_u32 s2, s0, 0xfffffd4b
	v_addc_co_u32_e32 v3, vcc, v1, v7, vcc
	s_mulk_i32 s1, 0xfd4b
	s_sub_i32 s2, s2, s0
	v_add_co_u32_e32 v4, vcc, s12, v2
	s_add_i32 s1, s2, s1
	s_mulk_i32 s0, 0xfd4b
	v_addc_co_u32_e32 v5, vcc, v3, v7, vcc
	s_lshl_b64 s[18:19], s[0:1], 2
	global_load_dword v11, v[0:1], off
	global_load_dword v12, v[2:3], off
	;; [unrolled: 1-line block ×3, first 2 shown]
	global_load_dword v37, v33, s[16:17] offset:3528
	v_mov_b32_e32 v1, s19
	v_add_co_u32_e32 v0, vcc, s18, v4
	v_addc_co_u32_e32 v1, vcc, v5, v1, vcc
	v_mov_b32_e32 v6, s17
	global_load_dword v4, v[0:1], off
	v_add_co_u32_e64 v8, s[2:3], s16, v33
	v_addc_co_u32_e64 v9, vcc, 0, v6, s[2:3]
	global_load_dword v35, v33, s[16:17] offset:2520
	global_load_dword v36, v33, s[16:17] offset:756
	v_add_co_u32_e32 v0, vcc, s12, v0
	v_addc_co_u32_e32 v1, vcc, v1, v7, vcc
	global_load_dword v5, v[0:1], off
	v_add_co_u32_e32 v0, vcc, s12, v0
	v_addc_co_u32_e32 v1, vcc, v1, v7, vcc
	s_movk_i32 s0, 0x1000
	v_add_co_u32_e32 v2, vcc, s0, v8
	global_load_dword v6, v[0:1], off
	v_addc_co_u32_e32 v3, vcc, 0, v9, vcc
	global_load_dword v34, v[2:3], off offset:188
	s_load_dwordx2 s[6:7], s[4:5], 0x38
	s_load_dwordx4 s[8:11], s[14:15], 0x0
	v_cmp_gt_u16_e64 s[0:1], 63, v39
	s_waitcnt vmcnt(9)
	v_lshrrev_b32_e32 v2, 16, v11
	v_mul_f16_sdwa v3, v40, v11 dst_sel:DWORD dst_unused:UNUSED_PAD src0_sel:WORD_1 src1_sel:DWORD
	v_mul_f16_sdwa v7, v40, v2 dst_sel:DWORD dst_unused:UNUSED_PAD src0_sel:WORD_1 src1_sel:DWORD
	v_fma_f16 v2, v40, v2, -v3
	s_waitcnt vmcnt(8)
	v_lshrrev_b32_e32 v3, 16, v12
	v_mul_f16_sdwa v14, v38, v12 dst_sel:DWORD dst_unused:UNUSED_PAD src0_sel:WORD_1 src1_sel:DWORD
	v_fma_f16 v7, v40, v11, v7
	v_mul_f16_sdwa v11, v38, v3 dst_sel:DWORD dst_unused:UNUSED_PAD src0_sel:WORD_1 src1_sel:DWORD
	v_fma_f16 v3, v38, v3, -v14
	s_waitcnt vmcnt(7)
	v_lshrrev_b32_e32 v14, 16, v13
	s_waitcnt vmcnt(6)
	v_mul_f16_sdwa v15, v37, v13 dst_sel:DWORD dst_unused:UNUSED_PAD src0_sel:WORD_1 src1_sel:DWORD
	v_pack_b32_f16 v2, v7, v2
	v_fma_f16 v7, v38, v12, v11
	v_mul_f16_sdwa v11, v37, v14 dst_sel:DWORD dst_unused:UNUSED_PAD src0_sel:WORD_1 src1_sel:DWORD
	v_fma_f16 v12, v37, v14, -v15
	v_pack_b32_f16 v3, v7, v3
	v_fma_f16 v7, v37, v13, v11
	s_waitcnt vmcnt(5)
	v_lshrrev_b32_e32 v14, 16, v4
	ds_write_b32 v33, v3 offset:1764
	v_pack_b32_f16 v3, v7, v12
	s_waitcnt vmcnt(3)
	v_mul_f16_sdwa v11, v36, v14 dst_sel:DWORD dst_unused:UNUSED_PAD src0_sel:WORD_1 src1_sel:DWORD
	ds_write_b32 v33, v3 offset:3528
	v_mul_f16_sdwa v3, v36, v4 dst_sel:DWORD dst_unused:UNUSED_PAD src0_sel:WORD_1 src1_sel:DWORD
	v_fma_f16 v7, v36, v4, v11
	v_fma_f16 v3, v36, v14, -v3
	v_pack_b32_f16 v3, v7, v3
	ds_write2_b32 v33, v2, v3 offset1:189
	s_waitcnt vmcnt(2)
	v_lshrrev_b32_e32 v2, 16, v5
	v_mul_f16_sdwa v3, v35, v2 dst_sel:DWORD dst_unused:UNUSED_PAD src0_sel:WORD_1 src1_sel:DWORD
	v_mul_f16_sdwa v4, v35, v5 dst_sel:DWORD dst_unused:UNUSED_PAD src0_sel:WORD_1 src1_sel:DWORD
	v_fma_f16 v3, v35, v5, v3
	v_fma_f16 v2, v35, v2, -v4
	v_pack_b32_f16 v2, v3, v2
	ds_write_b32 v33, v2 offset:2520
	s_waitcnt vmcnt(1)
	v_lshrrev_b32_e32 v2, 16, v6
	s_waitcnt vmcnt(0)
	v_mul_f16_sdwa v3, v34, v2 dst_sel:DWORD dst_unused:UNUSED_PAD src0_sel:WORD_1 src1_sel:DWORD
	v_mul_f16_sdwa v4, v34, v6 dst_sel:DWORD dst_unused:UNUSED_PAD src0_sel:WORD_1 src1_sel:DWORD
	v_fma_f16 v3, v34, v6, v3
	v_fma_f16 v2, v34, v2, -v4
	v_pack_b32_f16 v2, v3, v2
	ds_write_b32 v33, v2 offset:4284
	s_and_saveexec_b64 s[14:15], s[0:1]
	s_cbranch_execz .LBB0_3
; %bb.2:
	v_mov_b32_e32 v2, s19
	v_add_co_u32_e32 v0, vcc, s18, v0
	v_addc_co_u32_e32 v1, vcc, v1, v2, vcc
	global_load_dword v2, v[0:1], off
	v_mov_b32_e32 v3, s13
	v_add_co_u32_e32 v0, vcc, s12, v0
	v_addc_co_u32_e32 v1, vcc, v1, v3, vcc
	global_load_dword v4, v[0:1], off
	global_load_dword v5, v[8:9], off offset:1512
	global_load_dword v6, v[8:9], off offset:3276
	v_add_co_u32_e32 v0, vcc, s12, v0
	v_addc_co_u32_e32 v1, vcc, v1, v3, vcc
	global_load_dword v3, v[0:1], off
	v_add_co_u32_e32 v0, vcc, 0x1000, v8
	v_addc_co_u32_e32 v1, vcc, 0, v9, vcc
	global_load_dword v0, v[0:1], off offset:944
	s_waitcnt vmcnt(5)
	v_lshrrev_b32_e32 v1, 16, v2
	s_waitcnt vmcnt(3)
	v_mul_f16_sdwa v7, v5, v2 dst_sel:DWORD dst_unused:UNUSED_PAD src0_sel:WORD_1 src1_sel:DWORD
	v_mul_f16_sdwa v11, v5, v1 dst_sel:DWORD dst_unused:UNUSED_PAD src0_sel:WORD_1 src1_sel:DWORD
	v_fma_f16 v1, v5, v1, -v7
	v_lshrrev_b32_e32 v7, 16, v4
	s_waitcnt vmcnt(2)
	v_mul_f16_sdwa v12, v6, v4 dst_sel:DWORD dst_unused:UNUSED_PAD src0_sel:WORD_1 src1_sel:DWORD
	v_fma_f16 v2, v5, v2, v11
	v_mul_f16_sdwa v5, v6, v7 dst_sel:DWORD dst_unused:UNUSED_PAD src0_sel:WORD_1 src1_sel:DWORD
	s_waitcnt vmcnt(1)
	v_lshrrev_b32_e32 v11, 16, v3
	v_fma_f16 v7, v6, v7, -v12
	v_pack_b32_f16 v1, v2, v1
	v_fma_f16 v2, v6, v4, v5
	s_waitcnt vmcnt(0)
	v_mul_f16_sdwa v12, v0, v3 dst_sel:DWORD dst_unused:UNUSED_PAD src0_sel:WORD_1 src1_sel:DWORD
	v_mul_f16_sdwa v4, v0, v11 dst_sel:DWORD dst_unused:UNUSED_PAD src0_sel:WORD_1 src1_sel:DWORD
	v_fma_f16 v5, v0, v11, -v12
	v_fma_f16 v0, v0, v3, v4
	ds_write_b32 v33, v1 offset:1512
	v_pack_b32_f16 v1, v2, v7
	v_pack_b32_f16 v0, v0, v5
	ds_write_b32 v33, v1 offset:3276
	ds_write_b32 v33, v0 offset:5040
.LBB0_3:
	s_or_b64 exec, exec, s[14:15]
	v_add_u32_e32 v2, 0x600, v33
	v_add_u32_e32 v4, 0xd00, v33
	s_waitcnt lgkmcnt(0)
	s_barrier
	ds_read2_b32 v[0:1], v33 offset1:189
	ds_read2_b32 v[2:3], v2 offset0:57 offset1:246
	ds_read2_b32 v[4:5], v4 offset0:50 offset1:239
                                        ; implicit-def: $vgpr11
                                        ; implicit-def: $vgpr12
                                        ; implicit-def: $vgpr13
	s_and_saveexec_b64 s[12:13], s[0:1]
	s_cbranch_execz .LBB0_5
; %bb.4:
	ds_read_b32 v11, v33 offset:1512
	ds_read_b32 v12, v33 offset:3276
	ds_read_b32 v13, v33 offset:5040
.LBB0_5:
	s_or_b64 exec, exec, s[12:13]
	s_waitcnt lgkmcnt(1)
	v_pk_add_f16 v16, v11, v12
	s_waitcnt lgkmcnt(0)
	v_pk_add_f16 v17, v16, v13
	v_pk_add_f16 v16, v12, v13
	v_pk_add_f16 v12, v12, v13 neg_lo:[0,1] neg_hi:[0,1]
	s_movk_i32 s12, 0x3aee
	v_pk_fma_f16 v11, v16, 0.5, v11 op_sel_hi:[1,0,1] neg_lo:[1,0,0] neg_hi:[1,0,0]
	v_pk_mul_f16 v12, v12, s12 op_sel_hi:[1,0]
	v_pk_add_f16 v14, v0, v2
	v_pk_add_f16 v18, v11, v12 op_sel:[0,1] op_sel_hi:[1,0] neg_lo:[0,1] neg_hi:[0,1]
	v_pk_add_f16 v19, v11, v12 op_sel:[0,1] op_sel_hi:[1,0]
	v_pk_add_f16 v12, v2, v4
	v_pk_add_f16 v2, v2, v4 neg_lo:[0,1] neg_hi:[0,1]
	v_mul_lo_u16_e32 v11, 3, v39
	v_pk_fma_f16 v0, v12, 0.5, v0 op_sel_hi:[1,0,1] neg_lo:[1,0,0] neg_hi:[1,0,0]
	v_pk_mul_f16 v2, v2, s12 op_sel_hi:[1,0]
	v_lshlrev_b32_e32 v41, 2, v11
	v_pk_add_f16 v11, v14, v4
	v_pk_add_f16 v4, v0, v2 op_sel:[0,1] op_sel_hi:[1,0]
	v_pk_add_f16 v0, v0, v2 op_sel:[0,1] op_sel_hi:[1,0] neg_lo:[0,1] neg_hi:[0,1]
	s_mov_b32 s14, 0xffff
	v_bfi_b32 v2, s14, v4, v0
	s_barrier
	ds_write2_b32 v41, v11, v2 offset1:1
	v_pk_add_f16 v2, v3, v5
	s_load_dwordx2 s[4:5], s[4:5], 0x8
	v_pk_add_f16 v15, v1, v3
	v_pk_fma_f16 v1, v2, 0.5, v1 op_sel_hi:[1,0,1] neg_lo:[1,0,0] neg_hi:[1,0,0]
	v_pk_add_f16 v2, v3, v5 neg_lo:[0,1] neg_hi:[0,1]
	v_add_co_u32_e32 v7, vcc, 0xbd, v39
	v_bfi_b32 v0, s14, v0, v4
	v_pk_mul_f16 v2, v2, s12 op_sel_hi:[1,0]
	ds_write_b32 v41, v0 offset:8
	v_mul_u32_u24_e32 v0, 3, v7
	v_pk_add_f16 v3, v1, v2 op_sel:[0,1] op_sel_hi:[1,0]
	v_pk_add_f16 v1, v1, v2 op_sel:[0,1] op_sel_hi:[1,0] neg_lo:[0,1] neg_hi:[0,1]
	v_add_co_u32_e32 v6, vcc, 0x17a, v39
	v_lshlrev_b32_e32 v42, 2, v0
	v_pk_add_f16 v0, v15, v5
	v_bfi_b32 v2, s14, v3, v1
	ds_write2_b32 v42, v0, v2 offset1:1
	v_bfi_b32 v0, s14, v1, v3
	v_mul_u32_u24_e32 v43, 3, v6
	ds_write_b32 v42, v0 offset:8
	s_and_saveexec_b64 s[12:13], s[0:1]
	s_cbranch_execz .LBB0_7
; %bb.6:
	v_lshlrev_b32_e32 v0, 2, v43
	v_bfi_b32 v1, s14, v18, v19
	v_bfi_b32 v2, s14, v19, v18
	ds_write_b32 v0, v17
	ds_write2_b32 v0, v2, v1 offset0:1 offset1:2
.LBB0_7:
	s_or_b64 exec, exec, s[12:13]
	v_add_u32_e32 v2, 0x600, v33
	v_add_u32_e32 v4, 0xd00, v33
	s_waitcnt lgkmcnt(0)
	s_barrier
	ds_read2_b32 v[0:1], v33 offset1:189
	ds_read2_b32 v[2:3], v2 offset0:57 offset1:246
	ds_read2_b32 v[4:5], v4 offset0:50 offset1:239
	v_lshrrev_b32_e32 v20, 16, v18
	s_and_saveexec_b64 s[12:13], s[0:1]
	s_cbranch_execz .LBB0_9
; %bb.8:
	ds_read_b32 v11, v33 offset:3276
	ds_read_b32 v18, v33 offset:5040
	ds_read_b32 v17, v33 offset:1512
	s_waitcnt lgkmcnt(2)
	v_lshrrev_b32_e32 v20, 16, v11
	s_waitcnt lgkmcnt(1)
	v_bfi_b32 v19, s14, v11, v18
.LBB0_9:
	s_or_b64 exec, exec, s[12:13]
	s_movk_i32 s12, 0xab
	v_mul_lo_u16_sdwa v11, v39, s12 dst_sel:DWORD dst_unused:UNUSED_PAD src0_sel:BYTE_0 src1_sel:DWORD
	s_mov_b32 s12, 0xaaab
	v_lshrrev_b16_e32 v21, 9, v11
	v_mul_u32_u24_sdwa v12, v7, s12 dst_sel:DWORD dst_unused:UNUSED_PAD src0_sel:WORD_0 src1_sel:DWORD
	v_mul_u32_u24_sdwa v14, v6, s12 dst_sel:DWORD dst_unused:UNUSED_PAD src0_sel:WORD_0 src1_sel:DWORD
	v_mul_lo_u16_e32 v11, 3, v21
	v_lshrrev_b32_e32 v29, 17, v12
	v_lshrrev_b32_e32 v31, 17, v14
	v_sub_u16_e32 v11, v39, v11
	v_mul_lo_u16_e32 v12, 3, v29
	v_mul_lo_u16_e32 v15, 3, v31
	v_and_b32_e32 v22, 0xff, v11
	v_sub_u16_e32 v30, v7, v12
	v_sub_u16_e32 v32, v6, v15
	v_lshlrev_b32_e32 v11, 3, v22
	v_lshlrev_b16_e32 v12, 1, v30
	v_lshlrev_b16_e32 v15, 1, v32
	v_lshlrev_b32_e32 v13, 2, v12
	global_load_dwordx2 v[11:12], v11, s[4:5]
	v_lshlrev_b32_e32 v15, 2, v15
	global_load_dwordx2 v[13:14], v13, s[4:5]
	s_waitcnt lgkmcnt(1)
	v_lshrrev_b32_e32 v23, 16, v2
	global_load_dwordx2 v[15:16], v15, s[4:5]
	s_waitcnt lgkmcnt(0)
	v_lshrrev_b32_e32 v24, 16, v4
	v_mul_u32_u24_e32 v21, 9, v21
	v_add_lshl_u32 v44, v21, v22, 2
	v_lshrrev_b32_e32 v25, 16, v0
	v_lshrrev_b32_e32 v26, 16, v3
	;; [unrolled: 1-line block ×5, first 2 shown]
	s_movk_i32 s12, 0x3aee
	s_mov_b32 s13, 0xbaee
	s_waitcnt vmcnt(0)
	s_barrier
	v_mul_f16_sdwa v21, v2, v11 dst_sel:DWORD dst_unused:UNUSED_PAD src0_sel:DWORD src1_sel:WORD_1
	v_mul_f16_sdwa v22, v23, v11 dst_sel:DWORD dst_unused:UNUSED_PAD src0_sel:DWORD src1_sel:WORD_1
	;; [unrolled: 1-line block ×7, first 2 shown]
	v_fma_f16 v21, v23, v11, v21
	v_fma_f16 v23, v24, v12, v46
	v_fma_f16 v2, v2, v11, -v22
	v_fma_f16 v4, v4, v12, -v47
	v_mul_f16_sdwa v48, v26, v13 dst_sel:DWORD dst_unused:UNUSED_PAD src0_sel:DWORD src1_sel:WORD_1
	v_mul_f16_sdwa v50, v27, v14 dst_sel:DWORD dst_unused:UNUSED_PAD src0_sel:DWORD src1_sel:WORD_1
	v_mul_f16_sdwa v54, v28, v16 dst_sel:DWORD dst_unused:UNUSED_PAD src0_sel:DWORD src1_sel:WORD_1
	v_fma_f16 v22, v26, v13, v49
	v_fma_f16 v24, v27, v14, v51
	;; [unrolled: 1-line block ×3, first 2 shown]
	v_add_f16_e32 v26, v0, v2
	v_add_f16_e32 v28, v2, v4
	v_sub_f16_e32 v46, v21, v23
	v_add_f16_e32 v47, v25, v21
	v_add_f16_e32 v21, v21, v23
	v_mul_f16_sdwa v53, v20, v15 dst_sel:DWORD dst_unused:UNUSED_PAD src0_sel:DWORD src1_sel:WORD_1
	v_fma_f16 v3, v3, v13, -v48
	v_fma_f16 v5, v5, v14, -v50
	v_sub_f16_e32 v2, v2, v4
	v_sub_f16_e32 v50, v22, v24
	v_add_f16_e32 v51, v45, v22
	v_add_f16_e32 v22, v22, v24
	;; [unrolled: 1-line block ×4, first 2 shown]
	v_fma_f16 v21, v21, -0.5, v25
	v_fma_f16 v0, v28, -0.5, v0
	v_mul_f16_sdwa v52, v19, v15 dst_sel:DWORD dst_unused:UNUSED_PAD src0_sel:DWORD src1_sel:WORD_1
	v_fma_f16 v19, v19, v15, -v53
	v_fma_f16 v18, v18, v16, -v54
	v_add_f16_e32 v48, v3, v5
	v_add_f16_e32 v49, v1, v3
	v_sub_f16_e32 v3, v3, v5
	v_fma_f16 v22, v22, -0.5, v45
	v_pack_b32_f16 v4, v4, v23
	v_fma_f16 v23, v46, s12, v0
	v_fma_f16 v25, v2, s13, v21
	;; [unrolled: 1-line block ×3, first 2 shown]
	v_add_f16_e32 v52, v19, v18
	v_fma_f16 v45, v3, s13, v22
	v_fma_f16 v3, v3, s12, v22
	v_pack_b32_f16 v22, v23, v25
	v_add_f16_e32 v47, v51, v24
	v_fma_f16 v24, v52, -0.5, v17
	v_fma_f16 v0, v46, s13, v0
	v_fma_f16 v2, v2, s12, v21
	ds_write2_b32 v44, v4, v22 offset1:3
	v_sub_f16_e32 v4, v20, v27
	v_fma_f16 v1, v48, -0.5, v1
	v_fma_f16 v25, v4, s12, v24
	v_fma_f16 v26, v4, s13, v24
	v_lshrrev_b32_e32 v4, 16, v17
	v_pack_b32_f16 v0, v0, v2
	v_add_f16_e32 v5, v49, v5
	v_fma_f16 v21, v50, s12, v1
	v_add_f16_e32 v22, v4, v20
	v_add_f16_e32 v20, v20, v27
	;; [unrolled: 1-line block ×3, first 2 shown]
	ds_write_b32 v44, v0 offset:24
	v_mad_legacy_u16 v0, v29, 9, v30
	v_fma_f16 v1, v50, s13, v1
	v_fma_f16 v4, v20, -0.5, v4
	v_add_f16_e32 v23, v17, v18
	v_sub_f16_e32 v17, v19, v18
	v_pack_b32_f16 v2, v5, v47
	v_lshlrev_b32_e32 v46, 2, v0
	v_pack_b32_f16 v0, v21, v45
	v_add_f16_e32 v24, v22, v27
	v_fma_f16 v28, v17, s13, v4
	v_fma_f16 v27, v17, s12, v4
	ds_write2_b32 v46, v2, v0 offset1:3
	v_pack_b32_f16 v0, v1, v3
	v_mad_legacy_u16 v45, v31, 9, v32
	ds_write_b32 v46, v0 offset:24
	s_and_saveexec_b64 s[12:13], s[0:1]
	s_cbranch_execz .LBB0_11
; %bb.10:
	s_mov_b32 s14, 0x5040100
	v_lshlrev_b32_e32 v0, 2, v45
	v_perm_b32 v1, v24, v23, s14
	v_perm_b32 v2, v28, v25, s14
	ds_write2_b32 v0, v1, v2 offset1:3
	v_perm_b32 v1, v27, v26, s14
	ds_write_b32 v0, v1 offset:24
.LBB0_11:
	s_or_b64 exec, exec, s[12:13]
	v_add_u32_e32 v2, 0x600, v33
	v_add_u32_e32 v4, 0xd00, v33
	s_waitcnt lgkmcnt(0)
	s_barrier
	ds_read2_b32 v[0:1], v33 offset1:189
	ds_read2_b32 v[2:3], v2 offset0:57 offset1:246
	ds_read2_b32 v[4:5], v4 offset0:50 offset1:239
	s_and_saveexec_b64 s[12:13], s[0:1]
	s_cbranch_execz .LBB0_13
; %bb.12:
	ds_read_b32 v23, v33 offset:1512
	ds_read_b32 v25, v33 offset:3276
	;; [unrolled: 1-line block ×3, first 2 shown]
	s_waitcnt lgkmcnt(2)
	v_lshrrev_b32_e32 v24, 16, v23
	s_waitcnt lgkmcnt(1)
	v_lshrrev_b32_e32 v28, 16, v25
	;; [unrolled: 2-line block ×3, first 2 shown]
.LBB0_13:
	s_or_b64 exec, exec, s[12:13]
	v_mov_b32_e32 v19, 57
	v_mul_lo_u16_sdwa v19, v39, v19 dst_sel:DWORD dst_unused:UNUSED_PAD src0_sel:BYTE_0 src1_sel:DWORD
	v_lshrrev_b16_e32 v47, 9, v19
	v_mul_lo_u16_e32 v19, 9, v47
	v_sub_u16_e32 v19, v39, v19
	v_and_b32_e32 v48, 0xff, v19
	v_lshlrev_b32_e32 v19, 3, v48
	global_load_dwordx2 v[19:20], v19, s[4:5] offset:24
	s_waitcnt lgkmcnt(1)
	v_lshrrev_b32_e32 v17, 16, v2
	s_waitcnt lgkmcnt(0)
	v_lshrrev_b32_e32 v18, 16, v4
	s_mov_b32 s12, 0xe38f
	v_lshrrev_b32_e32 v31, 16, v3
	v_lshrrev_b32_e32 v32, 16, v5
	;; [unrolled: 1-line block ×3, first 2 shown]
	s_mov_b32 s13, 0xbaee
	v_lshrrev_b32_e32 v30, 16, v1
	s_waitcnt vmcnt(0)
	v_mul_f16_sdwa v21, v17, v19 dst_sel:DWORD dst_unused:UNUSED_PAD src0_sel:DWORD src1_sel:WORD_1
	v_fma_f16 v49, v2, v19, -v21
	v_mul_f16_sdwa v2, v2, v19 dst_sel:DWORD dst_unused:UNUSED_PAD src0_sel:DWORD src1_sel:WORD_1
	v_fma_f16 v50, v17, v19, v2
	v_mul_f16_sdwa v2, v18, v20 dst_sel:DWORD dst_unused:UNUSED_PAD src0_sel:DWORD src1_sel:WORD_1
	v_fma_f16 v51, v4, v20, -v2
	v_mul_f16_sdwa v2, v4, v20 dst_sel:DWORD dst_unused:UNUSED_PAD src0_sel:DWORD src1_sel:WORD_1
	v_fma_f16 v52, v18, v20, v2
	v_mul_u32_u24_sdwa v2, v7, s12 dst_sel:DWORD dst_unused:UNUSED_PAD src0_sel:WORD_0 src1_sel:DWORD
	v_lshrrev_b32_e32 v55, 19, v2
	v_mul_lo_u16_e32 v2, 9, v55
	v_sub_u16_e32 v7, v7, v2
	v_lshlrev_b16_e32 v2, 3, v7
	v_add_co_u32_e32 v17, vcc, s4, v2
	v_mov_b32_e32 v4, s5
	v_addc_co_u32_e32 v18, vcc, 0, v4, vcc
	global_load_dwordx2 v[21:22], v[17:18], off offset:24
	s_waitcnt vmcnt(0)
	v_mul_f16_sdwa v2, v31, v21 dst_sel:DWORD dst_unused:UNUSED_PAD src0_sel:DWORD src1_sel:WORD_1
	v_fma_f16 v53, v3, v21, -v2
	v_mul_f16_sdwa v2, v3, v21 dst_sel:DWORD dst_unused:UNUSED_PAD src0_sel:DWORD src1_sel:WORD_1
	v_fma_f16 v31, v31, v21, v2
	v_mul_f16_sdwa v2, v32, v22 dst_sel:DWORD dst_unused:UNUSED_PAD src0_sel:DWORD src1_sel:WORD_1
	v_fma_f16 v54, v5, v22, -v2
	v_mul_f16_sdwa v2, v5, v22 dst_sel:DWORD dst_unused:UNUSED_PAD src0_sel:DWORD src1_sel:WORD_1
	v_fma_f16 v32, v32, v22, v2
	v_mul_u32_u24_sdwa v2, v6, s12 dst_sel:DWORD dst_unused:UNUSED_PAD src0_sel:WORD_0 src1_sel:DWORD
	v_lshrrev_b32_e32 v56, 19, v2
	v_mul_lo_u16_e32 v2, 9, v56
	v_sub_u16_e32 v6, v6, v2
	v_lshlrev_b16_e32 v2, 3, v6
	v_add_co_u32_e32 v2, vcc, s4, v2
	v_addc_co_u32_e32 v3, vcc, 0, v4, vcc
	global_load_dwordx2 v[17:18], v[2:3], off offset:24
	s_movk_i32 s12, 0x3aee
	s_waitcnt vmcnt(0)
	s_barrier
	v_mul_f16_sdwa v3, v25, v17 dst_sel:DWORD dst_unused:UNUSED_PAD src0_sel:DWORD src1_sel:WORD_1
	v_fma_f16 v4, v28, v17, v3
	v_mul_f16_sdwa v3, v27, v18 dst_sel:DWORD dst_unused:UNUSED_PAD src0_sel:DWORD src1_sel:WORD_1
	v_mul_f16_sdwa v2, v28, v17 dst_sel:DWORD dst_unused:UNUSED_PAD src0_sel:DWORD src1_sel:WORD_1
	v_fma_f16 v3, v26, v18, -v3
	v_mul_f16_sdwa v5, v26, v18 dst_sel:DWORD dst_unused:UNUSED_PAD src0_sel:DWORD src1_sel:WORD_1
	v_add_f16_e32 v26, v49, v51
	v_fma_f16 v2, v25, v17, -v2
	v_add_f16_e32 v25, v0, v49
	v_fma_f16 v0, v26, -0.5, v0
	v_sub_f16_e32 v26, v50, v52
	v_add_f16_e32 v28, v50, v52
	v_fma_f16 v5, v27, v18, v5
	v_fma_f16 v27, v26, s12, v0
	;; [unrolled: 1-line block ×3, first 2 shown]
	v_add_f16_e32 v26, v29, v50
	v_fma_f16 v28, v28, -0.5, v29
	v_sub_f16_e32 v29, v49, v51
	v_add_f16_e32 v50, v53, v54
	v_fma_f16 v49, v29, s13, v28
	v_fma_f16 v28, v29, s12, v28
	v_add_f16_e32 v29, v1, v53
	v_fma_f16 v1, v50, -0.5, v1
	v_sub_f16_e32 v50, v31, v32
	v_fma_f16 v57, v50, s12, v1
	v_fma_f16 v1, v50, s13, v1
	v_add_f16_e32 v50, v30, v31
	v_add_f16_e32 v31, v31, v32
	v_fma_f16 v30, v31, -0.5, v30
	v_sub_f16_e32 v31, v53, v54
	v_add_f16_e32 v50, v50, v32
	v_fma_f16 v32, v31, s13, v30
	v_fma_f16 v30, v31, s12, v30
	v_add_f16_e32 v31, v2, v3
	v_add_f16_e32 v26, v26, v52
	v_fma_f16 v31, v31, -0.5, v23
	v_sub_f16_e32 v52, v4, v5
	v_add_f16_e32 v25, v25, v51
	v_fma_f16 v51, v52, s12, v31
	v_fma_f16 v52, v52, s13, v31
	v_add_f16_e32 v31, v4, v5
	v_add_f16_e32 v29, v29, v54
	v_fma_f16 v31, v31, -0.5, v24
	v_sub_f16_e32 v54, v2, v3
	v_fma_f16 v53, v54, s13, v31
	v_fma_f16 v54, v54, s12, v31
	v_mul_u32_u24_e32 v31, 27, v47
	v_add_lshl_u32 v48, v31, v48, 2
	v_pack_b32_f16 v0, v0, v28
	ds_write_b32 v48, v0 offset:72
	v_mad_legacy_u16 v0, v55, 27, v7
	v_pack_b32_f16 v25, v25, v26
	v_pack_b32_f16 v26, v27, v49
	v_lshlrev_b32_e32 v49, 2, v0
	v_pack_b32_f16 v0, v29, v50
	v_pack_b32_f16 v7, v57, v32
	ds_write2_b32 v48, v25, v26 offset1:9
	ds_write2_b32 v49, v0, v7 offset1:9
	v_pack_b32_f16 v0, v1, v30
	v_mad_legacy_u16 v47, v56, 27, v6
	ds_write_b32 v49, v0 offset:72
	s_and_saveexec_b64 s[12:13], s[0:1]
	s_cbranch_execz .LBB0_15
; %bb.14:
	v_add_f16_e32 v0, v24, v4
	v_add_f16_e32 v1, v23, v2
	;; [unrolled: 1-line block ×4, first 2 shown]
	s_mov_b32 s14, 0x5040100
	v_lshlrev_b32_e32 v2, 2, v47
	v_pack_b32_f16 v0, v1, v0
	v_perm_b32 v1, v53, v51, s14
	ds_write2_b32 v2, v0, v1 offset1:9
	v_perm_b32 v0, v54, v52, s14
	ds_write_b32 v2, v0 offset:72
.LBB0_15:
	s_or_b64 exec, exec, s[12:13]
	v_mov_b32_e32 v0, 19
	v_mul_lo_u16_sdwa v0, v39, v0 dst_sel:DWORD dst_unused:UNUSED_PAD src0_sel:BYTE_0 src1_sel:DWORD
	v_lshrrev_b16_e32 v27, 9, v0
	v_mul_lo_u16_e32 v0, 27, v27
	v_sub_u16_e32 v0, v39, v0
	v_and_b32_e32 v28, 0xff, v0
	v_mad_u64_u32 v[4:5], s[12:13], v28, 24, s[4:5]
	s_waitcnt lgkmcnt(0)
	s_barrier
	global_load_dwordx4 v[0:3], v[4:5], off offset:96
	global_load_dwordx2 v[23:24], v[4:5], off offset:112
	v_add_u32_e32 v57, 0x500, v33
	v_add_u32_e32 v58, 0xb00, v33
	ds_read2_b32 v[4:5], v33 offset1:189
	ds_read_b32 v29, v33 offset:4536
	ds_read2_b32 v[6:7], v57 offset0:58 offset1:247
	ds_read2_b32 v[25:26], v58 offset0:52 offset1:241
	s_movk_i32 s13, 0x2b26
	s_waitcnt lgkmcnt(3)
	v_lshrrev_b32_e32 v30, 16, v5
	s_waitcnt lgkmcnt(2)
	v_lshrrev_b32_e32 v31, 16, v29
	;; [unrolled: 2-line block ×4, first 2 shown]
	v_lshrrev_b32_e32 v50, 16, v7
	v_lshrrev_b32_e32 v55, 16, v25
	s_mov_b32 s14, 0xbcab
	s_movk_i32 s15, 0x39e0
	s_mov_b32 s16, 0xb9e0
	s_movk_i32 s18, 0x3574
	s_movk_i32 s12, 0x3b00
	s_mov_b32 s19, 0xb574
	s_movk_i32 s20, 0x370e
	v_mul_u32_u24_e32 v27, 0xbd, v27
	s_waitcnt vmcnt(0)
	s_barrier
	v_mul_f16_sdwa v59, v30, v0 dst_sel:DWORD dst_unused:UNUSED_PAD src0_sel:DWORD src1_sel:WORD_1
	v_mul_f16_sdwa v60, v5, v0 dst_sel:DWORD dst_unused:UNUSED_PAD src0_sel:DWORD src1_sel:WORD_1
	v_mul_f16_sdwa v61, v32, v1 dst_sel:DWORD dst_unused:UNUSED_PAD src0_sel:DWORD src1_sel:WORD_1
	v_mul_f16_sdwa v62, v6, v1 dst_sel:DWORD dst_unused:UNUSED_PAD src0_sel:DWORD src1_sel:WORD_1
	v_mul_f16_sdwa v67, v56, v23 dst_sel:DWORD dst_unused:UNUSED_PAD src0_sel:DWORD src1_sel:WORD_1
	v_mul_f16_sdwa v68, v26, v23 dst_sel:DWORD dst_unused:UNUSED_PAD src0_sel:DWORD src1_sel:WORD_1
	v_mul_f16_sdwa v69, v31, v24 dst_sel:DWORD dst_unused:UNUSED_PAD src0_sel:DWORD src1_sel:WORD_1
	v_mul_f16_sdwa v70, v29, v24 dst_sel:DWORD dst_unused:UNUSED_PAD src0_sel:DWORD src1_sel:WORD_1
	v_mul_f16_sdwa v63, v50, v2 dst_sel:DWORD dst_unused:UNUSED_PAD src0_sel:DWORD src1_sel:WORD_1
	v_mul_f16_sdwa v64, v7, v2 dst_sel:DWORD dst_unused:UNUSED_PAD src0_sel:DWORD src1_sel:WORD_1
	v_mul_f16_sdwa v65, v55, v3 dst_sel:DWORD dst_unused:UNUSED_PAD src0_sel:DWORD src1_sel:WORD_1
	v_mul_f16_sdwa v66, v25, v3 dst_sel:DWORD dst_unused:UNUSED_PAD src0_sel:DWORD src1_sel:WORD_1
	v_fma_f16 v5, v5, v0, -v59
	v_fma_f16 v30, v30, v0, v60
	v_fma_f16 v6, v6, v1, -v61
	v_fma_f16 v32, v32, v1, v62
	;; [unrolled: 2-line block ×6, first 2 shown]
	v_add_f16_e32 v59, v5, v29
	v_add_f16_e32 v60, v30, v31
	v_sub_f16_e32 v5, v5, v29
	v_sub_f16_e32 v29, v30, v31
	v_add_f16_e32 v30, v6, v26
	v_add_f16_e32 v31, v32, v56
	v_sub_f16_e32 v6, v6, v26
	v_sub_f16_e32 v26, v32, v56
	;; [unrolled: 4-line block ×4, first 2 shown]
	v_sub_f16_e32 v59, v59, v32
	v_sub_f16_e32 v60, v60, v56
	v_sub_f16_e32 v30, v32, v30
	v_sub_f16_e32 v31, v56, v31
	v_add_f16_e32 v63, v7, v6
	v_add_f16_e32 v64, v25, v26
	v_sub_f16_e32 v65, v7, v6
	v_sub_f16_e32 v66, v25, v26
	v_add_f16_e32 v32, v32, v50
	v_add_f16_e32 v50, v56, v55
	v_sub_f16_e32 v7, v5, v7
	v_sub_f16_e32 v25, v29, v25
	;; [unrolled: 1-line block ×4, first 2 shown]
	v_add_f16_e32 v5, v63, v5
	v_add_f16_e32 v29, v64, v29
	v_mul_f16_e32 v55, 0x3a52, v59
	v_mul_f16_e32 v56, 0x3a52, v60
	;; [unrolled: 1-line block ×6, first 2 shown]
	v_add_f16_e32 v67, v4, v32
	v_add_f16_sdwa v4, v4, v50 dst_sel:DWORD dst_unused:UNUSED_PAD src0_sel:WORD_1 src1_sel:DWORD
	v_mul_f16_e32 v65, 0x3b00, v6
	v_mul_f16_e32 v66, 0x3b00, v26
	v_fma_f16 v30, v30, s13, v55
	v_fma_f16 v32, v32, s14, v67
	;; [unrolled: 1-line block ×4, first 2 shown]
	v_fma_f16 v59, v61, s15, -v59
	v_fma_f16 v60, v62, s15, -v60
	;; [unrolled: 1-line block ×4, first 2 shown]
	v_fma_f16 v61, v7, s18, v63
	v_fma_f16 v62, v25, s18, v64
	v_fma_f16 v6, v6, s12, -v63
	v_fma_f16 v26, v26, s12, -v64
	;; [unrolled: 1-line block ×4, first 2 shown]
	v_add_f16_e32 v30, v30, v32
	v_add_f16_e32 v31, v31, v50
	v_add_f16_e32 v59, v59, v32
	v_add_f16_e32 v60, v60, v50
	v_add_f16_e32 v32, v55, v32
	v_add_f16_e32 v50, v56, v50
	v_fma_f16 v55, v5, s20, v61
	v_fma_f16 v56, v29, s20, v62
	;; [unrolled: 1-line block ×6, first 2 shown]
	v_add_f16_e32 v25, v56, v30
	v_sub_f16_e32 v29, v31, v55
	v_add_f16_e32 v61, v7, v32
	v_sub_f16_e32 v62, v50, v5
	v_sub_f16_e32 v63, v59, v26
	v_add_f16_e32 v64, v6, v60
	v_add_f16_e32 v5, v5, v50
	v_add_lshl_u32 v50, v27, v28, 2
	v_pack_b32_f16 v4, v67, v4
	v_pack_b32_f16 v25, v25, v29
	v_mad_u64_u32 v[27:28], s[4:5], v39, 24, s[4:5]
	v_add_f16_e32 v26, v26, v59
	v_sub_f16_e32 v6, v60, v6
	v_sub_f16_e32 v7, v32, v7
	ds_write2_b32 v50, v4, v25 offset1:27
	v_pack_b32_f16 v4, v61, v62
	v_pack_b32_f16 v25, v63, v64
	v_sub_f16_e32 v30, v30, v56
	v_add_f16_e32 v31, v55, v31
	ds_write2_b32 v50, v4, v25 offset0:54 offset1:81
	v_pack_b32_f16 v4, v26, v6
	v_pack_b32_f16 v5, v7, v5
	ds_write2_b32 v50, v4, v5 offset0:108 offset1:135
	v_pack_b32_f16 v4, v30, v31
	ds_write_b32 v50, v4 offset:648
	s_waitcnt lgkmcnt(0)
	s_barrier
	global_load_dwordx4 v[4:7], v[27:28], off offset:744
	global_load_dwordx2 v[25:26], v[27:28], off offset:760
	ds_read2_b32 v[27:28], v33 offset1:189
	ds_read2_b32 v[29:30], v57 offset0:58 offset1:247
	v_mov_b32_e32 v31, s17
	v_addc_co_u32_e64 v59, vcc, 0, v31, s[2:3]
	ds_read2_b32 v[31:32], v58 offset0:52 offset1:241
	ds_read_b32 v55, v33 offset:4536
	s_waitcnt lgkmcnt(3)
	v_lshrrev_b32_e32 v56, 16, v28
	s_waitcnt lgkmcnt(2)
	v_lshrrev_b32_e32 v61, 16, v30
	v_lshrrev_b32_e32 v60, 16, v29
	s_waitcnt lgkmcnt(1)
	v_lshrrev_b32_e32 v62, 16, v31
	;; [unrolled: 3-line block ×3, first 2 shown]
	s_movk_i32 s2, 0x1000
	s_waitcnt vmcnt(1)
	v_mul_f16_sdwa v65, v56, v4 dst_sel:DWORD dst_unused:UNUSED_PAD src0_sel:DWORD src1_sel:WORD_1
	v_mul_f16_sdwa v69, v61, v6 dst_sel:DWORD dst_unused:UNUSED_PAD src0_sel:DWORD src1_sel:WORD_1
	;; [unrolled: 1-line block ×3, first 2 shown]
	v_fma_f16 v28, v28, v4, -v65
	v_fma_f16 v65, v30, v6, -v69
	v_mul_f16_sdwa v30, v30, v6 dst_sel:DWORD dst_unused:UNUSED_PAD src0_sel:DWORD src1_sel:WORD_1
	v_fma_f16 v30, v61, v6, v30
	v_mul_f16_sdwa v61, v62, v7 dst_sel:DWORD dst_unused:UNUSED_PAD src0_sel:DWORD src1_sel:WORD_1
	v_fma_f16 v61, v31, v7, -v61
	v_mul_f16_sdwa v31, v31, v7 dst_sel:DWORD dst_unused:UNUSED_PAD src0_sel:DWORD src1_sel:WORD_1
	v_fma_f16 v31, v62, v7, v31
	s_waitcnt vmcnt(0)
	v_mul_f16_sdwa v62, v63, v25 dst_sel:DWORD dst_unused:UNUSED_PAD src0_sel:DWORD src1_sel:WORD_1
	v_fma_f16 v62, v32, v25, -v62
	v_mul_f16_sdwa v32, v32, v25 dst_sel:DWORD dst_unused:UNUSED_PAD src0_sel:DWORD src1_sel:WORD_1
	v_fma_f16 v32, v63, v25, v32
	v_mul_f16_sdwa v63, v64, v26 dst_sel:DWORD dst_unused:UNUSED_PAD src0_sel:DWORD src1_sel:WORD_1
	v_mul_f16_sdwa v67, v60, v5 dst_sel:DWORD dst_unused:UNUSED_PAD src0_sel:DWORD src1_sel:WORD_1
	;; [unrolled: 1-line block ×3, first 2 shown]
	v_fma_f16 v63, v55, v26, -v63
	v_mul_f16_sdwa v55, v55, v26 dst_sel:DWORD dst_unused:UNUSED_PAD src0_sel:DWORD src1_sel:WORD_1
	v_fma_f16 v56, v56, v4, v66
	v_fma_f16 v29, v29, v5, -v67
	v_fma_f16 v60, v60, v5, v68
	v_fma_f16 v55, v64, v26, v55
	v_add_f16_e32 v64, v28, v63
	v_add_f16_e32 v66, v56, v55
	v_sub_f16_e32 v28, v28, v63
	v_sub_f16_e32 v55, v56, v55
	v_add_f16_e32 v56, v29, v62
	v_add_f16_e32 v63, v60, v32
	v_sub_f16_e32 v29, v29, v62
	v_sub_f16_e32 v32, v60, v32
	;; [unrolled: 4-line block ×4, first 2 shown]
	v_sub_f16_e32 v64, v64, v60
	v_sub_f16_e32 v66, v66, v62
	;; [unrolled: 1-line block ×4, first 2 shown]
	v_add_f16_e32 v69, v61, v29
	v_add_f16_e32 v70, v30, v32
	v_sub_f16_e32 v71, v61, v29
	v_sub_f16_e32 v72, v30, v32
	v_add_f16_e32 v31, v60, v31
	v_add_f16_e32 v60, v62, v65
	v_sub_f16_e32 v61, v28, v61
	v_sub_f16_e32 v30, v55, v30
	;; [unrolled: 1-line block ×4, first 2 shown]
	v_add_f16_e32 v28, v69, v28
	v_add_f16_e32 v55, v70, v55
	;; [unrolled: 1-line block ×3, first 2 shown]
	v_add_f16_sdwa v27, v27, v60 dst_sel:DWORD dst_unused:UNUSED_PAD src0_sel:WORD_1 src1_sel:DWORD
	v_mul_f16_e32 v64, 0x3a52, v64
	v_mul_f16_e32 v65, 0x3a52, v66
	;; [unrolled: 1-line block ×8, first 2 shown]
	v_fma_f16 v31, v31, s14, v62
	v_fma_f16 v60, v60, s14, v27
	;; [unrolled: 1-line block ×4, first 2 shown]
	v_fma_f16 v66, v67, s15, -v66
	v_fma_f16 v69, v68, s15, -v69
	;; [unrolled: 1-line block ×4, first 2 shown]
	v_fma_f16 v67, v61, s18, v70
	v_fma_f16 v68, v30, s18, v71
	v_fma_f16 v29, v29, s12, -v70
	v_fma_f16 v32, v32, s12, -v71
	;; [unrolled: 1-line block ×4, first 2 shown]
	v_add_f16_e32 v56, v56, v31
	v_add_f16_e32 v63, v63, v60
	;; [unrolled: 1-line block ×6, first 2 shown]
	v_fma_f16 v64, v28, s20, v67
	v_fma_f16 v65, v55, s20, v68
	v_fma_f16 v29, v28, s20, v29
	v_fma_f16 v32, v55, s20, v32
	v_fma_f16 v28, v28, s20, v61
	v_fma_f16 v30, v55, s20, v30
	v_add_f16_e32 v61, v65, v56
	v_sub_f16_e32 v67, v63, v64
	v_add_f16_e32 v68, v30, v31
	v_sub_f16_e32 v70, v60, v28
	v_sub_f16_e32 v71, v66, v32
	v_add_f16_e32 v72, v29, v69
	v_sub_f16_e32 v30, v31, v30
	v_pack_b32_f16 v27, v62, v27
	v_pack_b32_f16 v31, v61, v67
	v_add_f16_e32 v32, v32, v66
	v_sub_f16_e32 v29, v69, v29
	v_add_f16_e32 v28, v28, v60
	ds_write2_b32 v33, v27, v31 offset1:189
	v_pack_b32_f16 v27, v68, v70
	v_pack_b32_f16 v31, v71, v72
	v_sub_f16_e32 v55, v56, v65
	v_add_f16_e32 v56, v64, v63
	ds_write2_b32 v57, v27, v31 offset0:58 offset1:247
	v_pack_b32_f16 v27, v32, v29
	v_pack_b32_f16 v28, v30, v28
	ds_write2_b32 v58, v27, v28 offset0:52 offset1:241
	v_pack_b32_f16 v27, v55, v56
	ds_write_b32 v33, v27 offset:4536
	v_add_co_u32_e32 v27, vcc, s2, v8
	v_addc_co_u32_e32 v28, vcc, 0, v59, vcc
	s_waitcnt lgkmcnt(0)
	s_barrier
	global_load_dword v31, v[27:28], off offset:1196
	s_movk_i32 s2, 0x14ac
	v_add_co_u32_e32 v27, vcc, s2, v8
	v_addc_co_u32_e32 v28, vcc, 0, v59, vcc
	global_load_dword v32, v[27:28], off offset:1764
	global_load_dword v61, v[27:28], off offset:3528
	;; [unrolled: 1-line block ×4, first 2 shown]
	v_add_co_u32_e32 v29, vcc, 0x2000, v8
	v_addc_co_u32_e32 v30, vcc, 0, v59, vcc
	global_load_dword v64, v[29:30], off offset:1384
	ds_read2_b32 v[29:30], v33 offset1:189
	s_waitcnt lgkmcnt(0)
	v_lshrrev_b32_e32 v57, 16, v29
	s_waitcnt vmcnt(5)
	v_mul_f16_sdwa v58, v57, v31 dst_sel:DWORD dst_unused:UNUSED_PAD src0_sel:DWORD src1_sel:WORD_1
	v_fma_f16 v58, v29, v31, -v58
	v_mul_f16_sdwa v29, v29, v31 dst_sel:DWORD dst_unused:UNUSED_PAD src0_sel:DWORD src1_sel:WORD_1
	v_fma_f16 v29, v57, v31, v29
	v_pack_b32_f16 v29, v58, v29
	ds_write_b32 v33, v29
	v_add_u32_e32 v29, 0x600, v33
	ds_read2_b32 v[57:58], v29 offset0:57 offset1:246
	v_add_u32_e32 v31, 0xd00, v33
	ds_read2_b32 v[59:60], v31 offset0:50 offset1:239
	s_waitcnt lgkmcnt(1)
	v_lshrrev_b32_e32 v65, 16, v57
	s_waitcnt vmcnt(4)
	v_mul_f16_sdwa v66, v65, v32 dst_sel:DWORD dst_unused:UNUSED_PAD src0_sel:DWORD src1_sel:WORD_1
	v_fma_f16 v66, v57, v32, -v66
	v_mul_f16_sdwa v57, v57, v32 dst_sel:DWORD dst_unused:UNUSED_PAD src0_sel:DWORD src1_sel:WORD_1
	v_fma_f16 v32, v65, v32, v57
	s_waitcnt lgkmcnt(0)
	v_lshrrev_b32_e32 v57, 16, v59
	s_waitcnt vmcnt(3)
	v_mul_f16_sdwa v65, v57, v61 dst_sel:DWORD dst_unused:UNUSED_PAD src0_sel:DWORD src1_sel:WORD_1
	v_fma_f16 v65, v59, v61, -v65
	v_mul_f16_sdwa v59, v59, v61 dst_sel:DWORD dst_unused:UNUSED_PAD src0_sel:DWORD src1_sel:WORD_1
	v_fma_f16 v57, v57, v61, v59
	v_lshrrev_b32_e32 v59, 16, v30
	s_waitcnt vmcnt(2)
	v_mul_f16_sdwa v61, v59, v62 dst_sel:DWORD dst_unused:UNUSED_PAD src0_sel:DWORD src1_sel:WORD_1
	v_fma_f16 v61, v30, v62, -v61
	v_mul_f16_sdwa v30, v30, v62 dst_sel:DWORD dst_unused:UNUSED_PAD src0_sel:DWORD src1_sel:WORD_1
	v_fma_f16 v30, v59, v62, v30
	v_pack_b32_f16 v32, v66, v32
	v_pack_b32_f16 v30, v61, v30
	v_add_u32_e32 v59, 0x2f0, v33
	ds_write2_b32 v59, v30, v32 offset0:1 offset1:253
	v_lshrrev_b32_e32 v30, 16, v58
	s_waitcnt vmcnt(1)
	v_mul_f16_sdwa v32, v30, v63 dst_sel:DWORD dst_unused:UNUSED_PAD src0_sel:DWORD src1_sel:WORD_1
	v_fma_f16 v32, v58, v63, -v32
	v_mul_f16_sdwa v58, v58, v63 dst_sel:DWORD dst_unused:UNUSED_PAD src0_sel:DWORD src1_sel:WORD_1
	v_fma_f16 v30, v30, v63, v58
	v_pack_b32_f16 v57, v65, v57
	v_pack_b32_f16 v30, v32, v30
	v_add_u32_e32 v32, 0x9d0, v33
	ds_write2_b32 v32, v30, v57 offset0:2 offset1:254
	v_lshrrev_b32_e32 v30, 16, v60
	s_waitcnt vmcnt(0)
	v_mul_f16_sdwa v32, v30, v64 dst_sel:DWORD dst_unused:UNUSED_PAD src0_sel:DWORD src1_sel:WORD_1
	v_mul_f16_sdwa v57, v60, v64 dst_sel:DWORD dst_unused:UNUSED_PAD src0_sel:DWORD src1_sel:WORD_1
	v_fma_f16 v32, v60, v64, -v32
	v_fma_f16 v30, v30, v64, v57
	v_pack_b32_f16 v30, v32, v30
	ds_write_b32 v33, v30 offset:4284
	s_and_saveexec_b64 s[2:3], s[0:1]
	s_cbranch_execz .LBB0_17
; %bb.16:
	global_load_dword v30, v[27:28], off offset:1512
	global_load_dword v32, v[27:28], off offset:3276
	v_add_co_u32_e32 v27, vcc, 0x1000, v27
	v_addc_co_u32_e32 v28, vcc, 0, v28, vcc
	global_load_dword v27, v[27:28], off offset:944
	ds_read_b32 v28, v33 offset:1512
	ds_read_b32 v57, v33 offset:3276
	;; [unrolled: 1-line block ×3, first 2 shown]
	s_waitcnt lgkmcnt(2)
	v_lshrrev_b32_e32 v59, 16, v28
	s_waitcnt lgkmcnt(1)
	v_lshrrev_b32_e32 v60, 16, v57
	s_waitcnt lgkmcnt(0)
	v_lshrrev_b32_e32 v61, 16, v58
	s_waitcnt vmcnt(2)
	v_mul_f16_sdwa v62, v59, v30 dst_sel:DWORD dst_unused:UNUSED_PAD src0_sel:DWORD src1_sel:WORD_1
	v_mul_f16_sdwa v63, v28, v30 dst_sel:DWORD dst_unused:UNUSED_PAD src0_sel:DWORD src1_sel:WORD_1
	s_waitcnt vmcnt(1)
	v_mul_f16_sdwa v64, v60, v32 dst_sel:DWORD dst_unused:UNUSED_PAD src0_sel:DWORD src1_sel:WORD_1
	v_mul_f16_sdwa v65, v57, v32 dst_sel:DWORD dst_unused:UNUSED_PAD src0_sel:DWORD src1_sel:WORD_1
	v_fma_f16 v28, v28, v30, -v62
	v_fma_f16 v30, v59, v30, v63
	v_fma_f16 v57, v57, v32, -v64
	v_fma_f16 v32, v60, v32, v65
	v_pack_b32_f16 v28, v28, v30
	v_pack_b32_f16 v30, v57, v32
	s_waitcnt vmcnt(0)
	v_mul_f16_sdwa v32, v61, v27 dst_sel:DWORD dst_unused:UNUSED_PAD src0_sel:DWORD src1_sel:WORD_1
	v_mul_f16_sdwa v57, v58, v27 dst_sel:DWORD dst_unused:UNUSED_PAD src0_sel:DWORD src1_sel:WORD_1
	ds_write_b32 v33, v28 offset:1512
	ds_write_b32 v33, v30 offset:3276
	v_fma_f16 v28, v58, v27, -v32
	v_fma_f16 v27, v61, v27, v57
	v_pack_b32_f16 v27, v28, v27
	ds_write_b32 v33, v27 offset:5040
.LBB0_17:
	s_or_b64 exec, exec, s[2:3]
	s_waitcnt lgkmcnt(0)
	s_barrier
	ds_read2_b32 v[27:28], v33 offset1:189
	ds_read2_b32 v[29:30], v29 offset0:57 offset1:246
	ds_read2_b32 v[31:32], v31 offset0:50 offset1:239
	s_and_saveexec_b64 s[2:3], s[0:1]
	s_cbranch_execz .LBB0_19
; %bb.18:
	ds_read_b32 v55, v33 offset:1512
	ds_read_b32 v51, v33 offset:3276
	;; [unrolled: 1-line block ×3, first 2 shown]
	s_waitcnt lgkmcnt(2)
	v_lshrrev_b32_e32 v56, 16, v55
	s_waitcnt lgkmcnt(1)
	v_lshrrev_b32_e32 v53, 16, v51
	;; [unrolled: 2-line block ×3, first 2 shown]
.LBB0_19:
	s_or_b64 exec, exec, s[2:3]
	v_add_f16_e32 v58, v51, v52
	v_add_f16_e32 v57, v55, v51
	v_fma_f16 v55, v58, -0.5, v55
	v_sub_f16_e32 v59, v53, v54
	s_mov_b32 s2, 0xbaee
	s_movk_i32 s3, 0x3aee
	v_fma_f16 v58, v59, s2, v55
	v_fma_f16 v59, v59, s3, v55
	v_add_f16_e32 v55, v56, v53
	s_waitcnt lgkmcnt(1)
	v_pk_add_f16 v60, v27, v29
	v_add_f16_e32 v55, v55, v54
	v_add_f16_e32 v53, v53, v54
	s_waitcnt lgkmcnt(0)
	v_pk_add_f16 v54, v29, v31
	v_pk_add_f16 v29, v29, v31 neg_lo:[0,1] neg_hi:[0,1]
	v_fma_f16 v53, v53, -0.5, v56
	v_sub_f16_e32 v51, v51, v52
	v_pk_fma_f16 v27, v54, 0.5, v27 op_sel_hi:[1,0,1] neg_lo:[1,0,0] neg_hi:[1,0,0]
	v_pk_mul_f16 v29, v29, s3 op_sel_hi:[1,0]
	v_add_f16_e32 v57, v57, v52
	v_fma_f16 v52, v51, s3, v53
	v_fma_f16 v51, v51, s2, v53
	v_pk_add_f16 v53, v60, v31
	v_pk_add_f16 v31, v27, v29 op_sel:[0,1] op_sel_hi:[1,0] neg_lo:[0,1] neg_hi:[0,1]
	v_pk_add_f16 v27, v27, v29 op_sel:[0,1] op_sel_hi:[1,0]
	s_mov_b32 s2, 0xffff
	v_bfi_b32 v29, s2, v31, v27
	s_barrier
	ds_write2_b32 v41, v53, v29 offset1:1
	v_pk_add_f16 v29, v30, v32
	v_pk_add_f16 v61, v28, v30
	v_pk_fma_f16 v28, v29, 0.5, v28 op_sel_hi:[1,0,1] neg_lo:[1,0,0] neg_hi:[1,0,0]
	v_pk_add_f16 v29, v30, v32 neg_lo:[0,1] neg_hi:[0,1]
	v_pk_mul_f16 v29, v29, s3 op_sel_hi:[1,0]
	v_bfi_b32 v27, s2, v27, v31
	v_pk_add_f16 v30, v28, v29 op_sel:[0,1] op_sel_hi:[1,0] neg_lo:[0,1] neg_hi:[0,1]
	v_pk_add_f16 v28, v28, v29 op_sel:[0,1] op_sel_hi:[1,0]
	ds_write_b32 v41, v27 offset:8
	v_pk_add_f16 v27, v61, v32
	v_bfi_b32 v29, s2, v30, v28
	ds_write2_b32 v42, v27, v29 offset1:1
	v_bfi_b32 v27, s2, v28, v30
	ds_write_b32 v42, v27 offset:8
	s_and_saveexec_b64 s[2:3], s[0:1]
	s_cbranch_execz .LBB0_21
; %bb.20:
	s_mov_b32 s4, 0x5040100
	v_lshlrev_b32_e32 v27, 2, v43
	v_perm_b32 v28, v52, v58, s4
	v_perm_b32 v29, v55, v57, s4
	ds_write2_b32 v27, v29, v28 offset1:1
	v_perm_b32 v28, v51, v59, s4
	ds_write_b32 v27, v28 offset:8
.LBB0_21:
	s_or_b64 exec, exec, s[2:3]
	v_add_u32_e32 v29, 0x600, v33
	v_add_u32_e32 v31, 0xd00, v33
	s_waitcnt lgkmcnt(0)
	s_barrier
	ds_read2_b32 v[27:28], v33 offset1:189
	ds_read2_b32 v[29:30], v29 offset0:57 offset1:246
	ds_read2_b32 v[31:32], v31 offset0:50 offset1:239
	s_and_saveexec_b64 s[2:3], s[0:1]
	s_cbranch_execz .LBB0_23
; %bb.22:
	ds_read_b32 v57, v33 offset:1512
	ds_read_b32 v58, v33 offset:3276
	;; [unrolled: 1-line block ×3, first 2 shown]
	s_waitcnt lgkmcnt(2)
	v_lshrrev_b32_e32 v55, 16, v57
	s_waitcnt lgkmcnt(1)
	v_lshrrev_b32_e32 v52, 16, v58
	;; [unrolled: 2-line block ×3, first 2 shown]
.LBB0_23:
	s_or_b64 exec, exec, s[2:3]
	s_waitcnt lgkmcnt(1)
	v_lshrrev_b32_e32 v42, 16, v29
	v_mul_f16_sdwa v60, v11, v42 dst_sel:DWORD dst_unused:UNUSED_PAD src0_sel:WORD_1 src1_sel:DWORD
	s_waitcnt lgkmcnt(0)
	v_lshrrev_b32_e32 v43, 16, v31
	v_fma_f16 v60, v11, v29, v60
	v_mul_f16_sdwa v29, v11, v29 dst_sel:DWORD dst_unused:UNUSED_PAD src0_sel:WORD_1 src1_sel:DWORD
	v_fma_f16 v11, v11, v42, -v29
	v_mul_f16_sdwa v29, v12, v43 dst_sel:DWORD dst_unused:UNUSED_PAD src0_sel:WORD_1 src1_sel:DWORD
	v_lshrrev_b32_e32 v54, 16, v30
	v_fma_f16 v29, v12, v31, v29
	v_mul_f16_sdwa v31, v12, v31 dst_sel:DWORD dst_unused:UNUSED_PAD src0_sel:WORD_1 src1_sel:DWORD
	v_fma_f16 v12, v12, v43, -v31
	v_mul_f16_sdwa v31, v13, v54 dst_sel:DWORD dst_unused:UNUSED_PAD src0_sel:WORD_1 src1_sel:DWORD
	;; [unrolled: 5-line block ×3, first 2 shown]
	v_fma_f16 v30, v14, v32, v30
	v_mul_f16_sdwa v32, v14, v32 dst_sel:DWORD dst_unused:UNUSED_PAD src0_sel:WORD_1 src1_sel:DWORD
	v_fma_f16 v14, v14, v56, -v32
	v_mul_f16_sdwa v32, v15, v52 dst_sel:DWORD dst_unused:UNUSED_PAD src0_sel:WORD_1 src1_sel:DWORD
	v_mul_f16_sdwa v42, v15, v58 dst_sel:DWORD dst_unused:UNUSED_PAD src0_sel:WORD_1 src1_sel:DWORD
	v_fma_f16 v32, v15, v58, v32
	v_fma_f16 v15, v15, v52, -v42
	v_mul_f16_sdwa v42, v16, v51 dst_sel:DWORD dst_unused:UNUSED_PAD src0_sel:WORD_1 src1_sel:DWORD
	v_mul_f16_sdwa v43, v16, v59 dst_sel:DWORD dst_unused:UNUSED_PAD src0_sel:WORD_1 src1_sel:DWORD
	v_fma_f16 v42, v16, v59, v42
	v_fma_f16 v16, v16, v51, -v43
	v_add_f16_e32 v51, v60, v29
	v_lshrrev_b32_e32 v41, 16, v27
	v_add_f16_e32 v43, v27, v60
	v_fma_f16 v27, v51, -0.5, v27
	v_sub_f16_e32 v51, v11, v12
	s_mov_b32 s2, 0xbaee
	s_movk_i32 s3, 0x3aee
	v_fma_f16 v52, v51, s2, v27
	v_fma_f16 v51, v51, s3, v27
	v_add_f16_e32 v27, v41, v11
	v_add_f16_e32 v11, v11, v12
	;; [unrolled: 1-line block ×3, first 2 shown]
	v_fma_f16 v11, v11, -0.5, v41
	v_sub_f16_e32 v12, v60, v29
	v_add_f16_e32 v27, v31, v30
	v_lshrrev_b32_e32 v53, 16, v28
	v_fma_f16 v41, v12, s3, v11
	v_fma_f16 v11, v12, s2, v11
	v_add_f16_e32 v12, v28, v31
	v_fma_f16 v27, v27, -0.5, v28
	v_sub_f16_e32 v28, v13, v14
	v_fma_f16 v56, v28, s2, v27
	v_fma_f16 v58, v28, s3, v27
	v_add_f16_e32 v27, v53, v13
	v_add_f16_e32 v13, v13, v14
	;; [unrolled: 1-line block ×3, first 2 shown]
	v_fma_f16 v13, v13, -0.5, v53
	v_sub_f16_e32 v14, v31, v30
	v_fma_f16 v53, v14, s3, v13
	v_fma_f16 v13, v14, s2, v13
	v_add_f16_e32 v14, v57, v32
	v_add_f16_e32 v27, v14, v42
	;; [unrolled: 1-line block ×4, first 2 shown]
	v_fma_f16 v14, v14, -0.5, v57
	v_sub_f16_e32 v29, v15, v16
	v_add_f16_e32 v12, v12, v30
	v_fma_f16 v28, v29, s2, v14
	v_fma_f16 v30, v29, s3, v14
	v_add_f16_e32 v14, v55, v15
	v_add_f16_e32 v29, v14, v16
	;; [unrolled: 1-line block ×3, first 2 shown]
	v_fma_f16 v14, v14, -0.5, v55
	v_sub_f16_e32 v15, v32, v42
	v_pack_b32_f16 v11, v51, v11
	v_fma_f16 v31, v15, s3, v14
	v_fma_f16 v32, v15, s2, v14
	s_barrier
	v_pack_b32_f16 v14, v43, v54
	v_pack_b32_f16 v15, v52, v41
	ds_write_b32 v44, v11 offset:24
	v_pack_b32_f16 v11, v12, v59
	v_pack_b32_f16 v12, v56, v53
	ds_write2_b32 v44, v14, v15 offset1:3
	ds_write2_b32 v46, v11, v12 offset1:3
	v_pack_b32_f16 v11, v58, v13
	ds_write_b32 v46, v11 offset:24
	s_and_saveexec_b64 s[2:3], s[0:1]
	s_cbranch_execz .LBB0_25
; %bb.24:
	s_mov_b32 s4, 0x5040100
	v_lshlrev_b32_e32 v11, 2, v45
	v_perm_b32 v12, v29, v27, s4
	v_perm_b32 v13, v31, v28, s4
	ds_write2_b32 v11, v12, v13 offset1:3
	v_perm_b32 v12, v32, v30, s4
	ds_write_b32 v11, v12 offset:24
.LBB0_25:
	s_or_b64 exec, exec, s[2:3]
	v_add_u32_e32 v13, 0x600, v33
	v_add_u32_e32 v15, 0xd00, v33
	s_waitcnt lgkmcnt(0)
	s_barrier
	ds_read2_b32 v[11:12], v33 offset1:189
	ds_read2_b32 v[13:14], v13 offset0:57 offset1:246
	ds_read2_b32 v[15:16], v15 offset0:50 offset1:239
	s_and_saveexec_b64 s[2:3], s[0:1]
	s_cbranch_execz .LBB0_27
; %bb.26:
	ds_read_b32 v27, v33 offset:1512
	ds_read_b32 v28, v33 offset:3276
	;; [unrolled: 1-line block ×3, first 2 shown]
	s_waitcnt lgkmcnt(2)
	v_lshrrev_b32_e32 v29, 16, v27
	s_waitcnt lgkmcnt(1)
	v_lshrrev_b32_e32 v31, 16, v28
	s_waitcnt lgkmcnt(0)
	v_lshrrev_b32_e32 v32, 16, v30
.LBB0_27:
	s_or_b64 exec, exec, s[2:3]
	s_waitcnt lgkmcnt(1)
	v_lshrrev_b32_e32 v42, 16, v13
	v_mul_f16_sdwa v51, v19, v42 dst_sel:DWORD dst_unused:UNUSED_PAD src0_sel:WORD_1 src1_sel:DWORD
	s_waitcnt lgkmcnt(0)
	v_lshrrev_b32_e32 v43, 16, v15
	v_fma_f16 v51, v19, v13, v51
	v_mul_f16_sdwa v13, v19, v13 dst_sel:DWORD dst_unused:UNUSED_PAD src0_sel:WORD_1 src1_sel:DWORD
	v_fma_f16 v13, v19, v42, -v13
	v_mul_f16_sdwa v19, v20, v43 dst_sel:DWORD dst_unused:UNUSED_PAD src0_sel:WORD_1 src1_sel:DWORD
	v_lshrrev_b32_e32 v45, 16, v14
	v_fma_f16 v19, v20, v15, v19
	v_mul_f16_sdwa v15, v20, v15 dst_sel:DWORD dst_unused:UNUSED_PAD src0_sel:WORD_1 src1_sel:DWORD
	v_fma_f16 v15, v20, v43, -v15
	v_mul_f16_sdwa v20, v21, v45 dst_sel:DWORD dst_unused:UNUSED_PAD src0_sel:WORD_1 src1_sel:DWORD
	;; [unrolled: 5-line block ×3, first 2 shown]
	v_fma_f16 v21, v22, v16, v21
	v_mul_f16_sdwa v16, v22, v16 dst_sel:DWORD dst_unused:UNUSED_PAD src0_sel:WORD_1 src1_sel:DWORD
	v_add_f16_e32 v42, v51, v19
	v_lshrrev_b32_e32 v41, 16, v11
	v_fma_f16 v16, v22, v46, -v16
	v_add_f16_e32 v22, v11, v51
	v_fma_f16 v11, v42, -0.5, v11
	v_sub_f16_e32 v42, v13, v15
	s_mov_b32 s4, 0xbaee
	s_movk_i32 s5, 0x3aee
	v_fma_f16 v43, v42, s4, v11
	v_fma_f16 v11, v42, s5, v11
	v_add_f16_e32 v42, v41, v13
	v_add_f16_e32 v13, v13, v15
	;; [unrolled: 1-line block ×3, first 2 shown]
	v_fma_f16 v13, v13, -0.5, v41
	v_sub_f16_e32 v15, v51, v19
	v_add_f16_e32 v41, v20, v21
	v_lshrrev_b32_e32 v44, 16, v12
	v_add_f16_e32 v22, v22, v19
	v_fma_f16 v19, v15, s5, v13
	v_fma_f16 v13, v15, s4, v13
	v_add_f16_e32 v15, v12, v20
	v_fma_f16 v12, v41, -0.5, v12
	v_sub_f16_e32 v41, v14, v16
	v_fma_f16 v45, v41, s4, v12
	v_fma_f16 v12, v41, s5, v12
	v_add_f16_e32 v41, v44, v14
	v_add_f16_e32 v14, v14, v16
	;; [unrolled: 1-line block ×3, first 2 shown]
	v_fma_f16 v14, v14, -0.5, v44
	v_sub_f16_e32 v16, v20, v21
	v_add_f16_e32 v15, v15, v21
	v_fma_f16 v20, v16, s5, v14
	v_pack_b32_f16 v11, v11, v13
	v_fma_f16 v14, v16, s4, v14
	s_barrier
	v_pack_b32_f16 v16, v22, v42
	v_pack_b32_f16 v19, v43, v19
	ds_write_b32 v48, v11 offset:72
	v_pack_b32_f16 v11, v15, v41
	v_pack_b32_f16 v13, v45, v20
	ds_write2_b32 v48, v16, v19 offset1:9
	ds_write2_b32 v49, v11, v13 offset1:9
	v_pack_b32_f16 v11, v12, v14
	ds_write_b32 v49, v11 offset:72
	s_and_saveexec_b64 s[2:3], s[0:1]
	s_cbranch_execz .LBB0_29
; %bb.28:
	v_mul_f16_sdwa v11, v17, v28 dst_sel:DWORD dst_unused:UNUSED_PAD src0_sel:WORD_1 src1_sel:DWORD
	v_mul_f16_sdwa v12, v18, v30 dst_sel:DWORD dst_unused:UNUSED_PAD src0_sel:WORD_1 src1_sel:DWORD
	v_fma_f16 v11, v17, v31, -v11
	v_fma_f16 v12, v18, v32, -v12
	v_mul_f16_sdwa v14, v17, v31 dst_sel:DWORD dst_unused:UNUSED_PAD src0_sel:WORD_1 src1_sel:DWORD
	v_mul_f16_sdwa v15, v18, v32 dst_sel:DWORD dst_unused:UNUSED_PAD src0_sel:WORD_1 src1_sel:DWORD
	v_add_f16_e32 v13, v11, v12
	v_fma_f16 v14, v17, v28, v14
	v_fma_f16 v15, v18, v30, v15
	v_fma_f16 v13, v13, -0.5, v29
	v_sub_f16_e32 v16, v14, v15
	v_add_f16_e32 v18, v14, v15
	v_fma_f16 v17, v16, s4, v13
	v_fma_f16 v13, v16, s5, v13
	v_add_f16_e32 v16, v29, v11
	v_fma_f16 v18, v18, -0.5, v27
	v_sub_f16_e32 v11, v11, v12
	v_add_f16_e32 v14, v27, v14
	v_add_f16_e32 v16, v16, v12
	v_fma_f16 v12, v11, s5, v18
	v_fma_f16 v11, v11, s4, v18
	v_add_f16_e32 v14, v14, v15
	v_lshlrev_b32_e32 v15, 2, v47
	v_pack_b32_f16 v14, v14, v16
	v_pack_b32_f16 v11, v11, v13
	ds_write2_b32 v15, v14, v11 offset1:9
	v_pack_b32_f16 v11, v12, v17
	ds_write_b32 v15, v11 offset:72
.LBB0_29:
	s_or_b64 exec, exec, s[2:3]
	s_waitcnt lgkmcnt(0)
	s_barrier
	ds_read2_b32 v[11:12], v33 offset1:189
	v_add_u32_e32 v17, 0x500, v33
	ds_read2_b32 v[13:14], v17 offset0:58 offset1:247
	v_add_u32_e32 v18, 0xb00, v33
	ds_read2_b32 v[15:16], v18 offset0:52 offset1:241
	s_waitcnt lgkmcnt(2)
	v_lshrrev_b32_e32 v19, 16, v12
	v_mul_f16_sdwa v30, v0, v19 dst_sel:DWORD dst_unused:UNUSED_PAD src0_sel:WORD_1 src1_sel:DWORD
	s_waitcnt lgkmcnt(1)
	v_lshrrev_b32_e32 v21, 16, v13
	v_fma_f16 v30, v0, v12, v30
	v_mul_f16_sdwa v12, v0, v12 dst_sel:DWORD dst_unused:UNUSED_PAD src0_sel:WORD_1 src1_sel:DWORD
	ds_read_b32 v20, v33 offset:4536
	v_fma_f16 v0, v0, v19, -v12
	v_mul_f16_sdwa v12, v1, v21 dst_sel:DWORD dst_unused:UNUSED_PAD src0_sel:WORD_1 src1_sel:DWORD
	v_lshrrev_b32_e32 v22, 16, v14
	v_fma_f16 v12, v1, v13, v12
	v_mul_f16_sdwa v13, v1, v13 dst_sel:DWORD dst_unused:UNUSED_PAD src0_sel:WORD_1 src1_sel:DWORD
	v_fma_f16 v1, v1, v21, -v13
	v_mul_f16_sdwa v13, v2, v22 dst_sel:DWORD dst_unused:UNUSED_PAD src0_sel:WORD_1 src1_sel:DWORD
	s_waitcnt lgkmcnt(1)
	v_lshrrev_b32_e32 v27, 16, v15
	v_fma_f16 v13, v2, v14, v13
	v_mul_f16_sdwa v14, v2, v14 dst_sel:DWORD dst_unused:UNUSED_PAD src0_sel:WORD_1 src1_sel:DWORD
	v_fma_f16 v2, v2, v22, -v14
	v_mul_f16_sdwa v14, v3, v27 dst_sel:DWORD dst_unused:UNUSED_PAD src0_sel:WORD_1 src1_sel:DWORD
	v_lshrrev_b32_e32 v28, 16, v16
	s_waitcnt lgkmcnt(0)
	v_lshrrev_b32_e32 v29, 16, v20
	v_fma_f16 v14, v3, v15, v14
	v_mul_f16_sdwa v15, v3, v15 dst_sel:DWORD dst_unused:UNUSED_PAD src0_sel:WORD_1 src1_sel:DWORD
	v_fma_f16 v3, v3, v27, -v15
	v_mul_f16_sdwa v15, v23, v28 dst_sel:DWORD dst_unused:UNUSED_PAD src0_sel:WORD_1 src1_sel:DWORD
	v_mul_f16_sdwa v19, v24, v29 dst_sel:DWORD dst_unused:UNUSED_PAD src0_sel:WORD_1 src1_sel:DWORD
	v_fma_f16 v15, v23, v16, v15
	v_mul_f16_sdwa v16, v23, v16 dst_sel:DWORD dst_unused:UNUSED_PAD src0_sel:WORD_1 src1_sel:DWORD
	v_fma_f16 v19, v24, v20, v19
	v_mul_f16_sdwa v20, v24, v20 dst_sel:DWORD dst_unused:UNUSED_PAD src0_sel:WORD_1 src1_sel:DWORD
	v_fma_f16 v16, v23, v28, -v16
	v_fma_f16 v20, v24, v29, -v20
	v_add_f16_e32 v21, v30, v19
	v_add_f16_e32 v22, v0, v20
	v_sub_f16_e32 v0, v0, v20
	v_add_f16_e32 v20, v12, v15
	v_add_f16_e32 v23, v1, v16
	v_sub_f16_e32 v19, v30, v19
	v_sub_f16_e32 v12, v12, v15
	;; [unrolled: 1-line block ×3, first 2 shown]
	v_add_f16_e32 v15, v13, v14
	v_add_f16_e32 v16, v2, v3
	v_sub_f16_e32 v13, v14, v13
	v_sub_f16_e32 v2, v3, v2
	v_add_f16_e32 v3, v20, v21
	v_add_f16_e32 v14, v23, v22
	v_sub_f16_e32 v24, v20, v21
	v_sub_f16_e32 v27, v23, v22
	;; [unrolled: 1-line block ×6, first 2 shown]
	v_add_f16_e32 v28, v13, v12
	v_add_f16_e32 v29, v2, v1
	v_sub_f16_e32 v30, v13, v12
	v_sub_f16_e32 v31, v2, v1
	v_sub_f16_e32 v12, v12, v19
	v_sub_f16_e32 v1, v1, v0
	v_add_f16_e32 v3, v15, v3
	v_add_f16_e32 v14, v16, v14
	v_sub_f16_e32 v13, v19, v13
	v_sub_f16_e32 v2, v0, v2
	v_add_f16_e32 v15, v28, v19
	v_add_f16_e32 v0, v29, v0
	;; [unrolled: 1-line block ×3, first 2 shown]
	v_add_f16_sdwa v11, v11, v14 dst_sel:DWORD dst_unused:UNUSED_PAD src0_sel:WORD_1 src1_sel:DWORD
	v_mul_f16_e32 v19, 0x3a52, v21
	v_mul_f16_e32 v21, 0x3a52, v22
	s_movk_i32 s2, 0x2b26
	v_mul_f16_e32 v22, 0x2b26, v20
	v_mul_f16_e32 v28, 0x2b26, v23
	;; [unrolled: 1-line block ×4, first 2 shown]
	s_mov_b32 s3, 0xbb00
	v_mul_f16_e32 v31, 0xbb00, v12
	v_mul_f16_e32 v32, 0xbb00, v1
	s_mov_b32 s4, 0xbcab
	s_movk_i32 s5, 0x39e0
	s_mov_b32 s12, 0xb9e0
	s_mov_b32 s13, 0xb574
	s_movk_i32 s14, 0x3574
	v_fma_f16 v3, v3, s4, v16
	v_fma_f16 v14, v14, s4, v11
	;; [unrolled: 1-line block ×4, first 2 shown]
	v_fma_f16 v22, v24, s5, -v22
	v_fma_f16 v28, v27, s5, -v28
	;; [unrolled: 1-line block ×4, first 2 shown]
	v_fma_f16 v24, v13, s13, v29
	v_fma_f16 v27, v2, s13, v30
	v_fma_f16 v12, v12, s3, -v29
	v_fma_f16 v1, v1, s3, -v30
	;; [unrolled: 1-line block ×4, first 2 shown]
	s_mov_b32 s15, 0xb70e
	v_add_f16_e32 v20, v20, v3
	v_add_f16_e32 v23, v23, v14
	;; [unrolled: 1-line block ×6, first 2 shown]
	v_fma_f16 v19, v15, s15, v24
	v_fma_f16 v21, v0, s15, v27
	v_fma_f16 v12, v15, s15, v12
	v_fma_f16 v1, v0, s15, v1
	v_fma_f16 v13, v15, s15, v13
	v_fma_f16 v0, v0, s15, v2
	v_add_f16_e32 v2, v21, v20
	v_sub_f16_e32 v15, v23, v19
	v_add_f16_e32 v24, v0, v3
	v_sub_f16_e32 v29, v22, v1
	v_add_f16_e32 v30, v12, v28
	v_add_f16_e32 v1, v1, v22
	v_sub_f16_e32 v12, v28, v12
	v_sub_f16_e32 v0, v3, v0
	v_add_f16_e32 v3, v13, v14
	v_sub_f16_e32 v27, v14, v13
	v_sub_f16_e32 v13, v20, v21
	v_add_f16_e32 v14, v19, v23
	v_pack_b32_f16 v11, v16, v11
	v_pack_b32_f16 v2, v2, v15
	;; [unrolled: 1-line block ×4, first 2 shown]
	s_barrier
	ds_write2_b32 v50, v11, v2 offset1:27
	v_pack_b32_f16 v2, v24, v27
	v_pack_b32_f16 v11, v29, v30
	ds_write2_b32 v50, v1, v0 offset0:108 offset1:135
	v_pack_b32_f16 v0, v13, v14
	ds_write2_b32 v50, v2, v11 offset0:54 offset1:81
	ds_write_b32 v50, v0 offset:648
	s_waitcnt lgkmcnt(0)
	s_barrier
	ds_read2_b32 v[0:1], v33 offset1:189
	ds_read2_b32 v[2:3], v17 offset0:58 offset1:247
	ds_read2_b32 v[11:12], v18 offset0:52 offset1:241
	ds_read_b32 v14, v33 offset:4536
	s_movk_i32 s16, 0x1000
	s_waitcnt lgkmcnt(3)
	v_lshrrev_b32_e32 v13, 16, v1
	v_mul_f16_sdwa v22, v4, v13 dst_sel:DWORD dst_unused:UNUSED_PAD src0_sel:WORD_1 src1_sel:DWORD
	s_waitcnt lgkmcnt(2)
	v_lshrrev_b32_e32 v15, 16, v2
	v_fma_f16 v22, v4, v1, v22
	v_mul_f16_sdwa v1, v4, v1 dst_sel:DWORD dst_unused:UNUSED_PAD src0_sel:WORD_1 src1_sel:DWORD
	v_fma_f16 v1, v4, v13, -v1
	v_mul_f16_sdwa v4, v5, v15 dst_sel:DWORD dst_unused:UNUSED_PAD src0_sel:WORD_1 src1_sel:DWORD
	v_lshrrev_b32_e32 v16, 16, v3
	v_fma_f16 v4, v5, v2, v4
	v_mul_f16_sdwa v2, v5, v2 dst_sel:DWORD dst_unused:UNUSED_PAD src0_sel:WORD_1 src1_sel:DWORD
	v_fma_f16 v2, v5, v15, -v2
	v_mul_f16_sdwa v5, v6, v16 dst_sel:DWORD dst_unused:UNUSED_PAD src0_sel:WORD_1 src1_sel:DWORD
	s_waitcnt lgkmcnt(1)
	v_lshrrev_b32_e32 v19, 16, v11
	v_fma_f16 v5, v6, v3, v5
	v_mul_f16_sdwa v3, v6, v3 dst_sel:DWORD dst_unused:UNUSED_PAD src0_sel:WORD_1 src1_sel:DWORD
	v_fma_f16 v3, v6, v16, -v3
	v_mul_f16_sdwa v6, v7, v19 dst_sel:DWORD dst_unused:UNUSED_PAD src0_sel:WORD_1 src1_sel:DWORD
	v_lshrrev_b32_e32 v20, 16, v12
	s_waitcnt lgkmcnt(0)
	v_lshrrev_b32_e32 v21, 16, v14
	v_fma_f16 v6, v7, v11, v6
	v_mul_f16_sdwa v11, v7, v11 dst_sel:DWORD dst_unused:UNUSED_PAD src0_sel:WORD_1 src1_sel:DWORD
	v_fma_f16 v7, v7, v19, -v11
	v_mul_f16_sdwa v11, v25, v20 dst_sel:DWORD dst_unused:UNUSED_PAD src0_sel:WORD_1 src1_sel:DWORD
	v_mul_f16_sdwa v13, v26, v21 dst_sel:DWORD dst_unused:UNUSED_PAD src0_sel:WORD_1 src1_sel:DWORD
	v_fma_f16 v11, v25, v12, v11
	v_mul_f16_sdwa v12, v25, v12 dst_sel:DWORD dst_unused:UNUSED_PAD src0_sel:WORD_1 src1_sel:DWORD
	v_fma_f16 v13, v26, v14, v13
	v_mul_f16_sdwa v14, v26, v14 dst_sel:DWORD dst_unused:UNUSED_PAD src0_sel:WORD_1 src1_sel:DWORD
	v_fma_f16 v12, v25, v20, -v12
	v_fma_f16 v14, v26, v21, -v14
	v_add_f16_e32 v15, v22, v13
	v_add_f16_e32 v16, v1, v14
	v_sub_f16_e32 v1, v1, v14
	v_add_f16_e32 v14, v4, v11
	v_add_f16_e32 v19, v2, v12
	v_sub_f16_e32 v4, v4, v11
	v_sub_f16_e32 v2, v2, v12
	v_add_f16_e32 v11, v5, v6
	v_add_f16_e32 v12, v3, v7
	v_sub_f16_e32 v5, v6, v5
	;; [unrolled: 4-line block ×3, first 2 shown]
	v_sub_f16_e32 v20, v14, v15
	v_sub_f16_e32 v21, v19, v16
	;; [unrolled: 1-line block ×6, first 2 shown]
	v_add_f16_e32 v22, v5, v4
	v_add_f16_e32 v23, v3, v2
	v_sub_f16_e32 v24, v5, v4
	v_sub_f16_e32 v25, v3, v2
	v_add_f16_e32 v6, v11, v6
	v_add_f16_e32 v7, v12, v7
	v_sub_f16_e32 v5, v13, v5
	v_sub_f16_e32 v3, v1, v3
	;; [unrolled: 1-line block ×4, first 2 shown]
	v_add_f16_e32 v11, v22, v13
	v_add_f16_e32 v1, v23, v1
	;; [unrolled: 1-line block ×3, first 2 shown]
	v_add_f16_sdwa v0, v0, v7 dst_sel:DWORD dst_unused:UNUSED_PAD src0_sel:WORD_1 src1_sel:DWORD
	v_mul_f16_e32 v13, 0x3a52, v15
	v_mul_f16_e32 v15, 0x3a52, v16
	;; [unrolled: 1-line block ×8, first 2 shown]
	v_fma_f16 v6, v6, s4, v12
	v_fma_f16 v7, v7, s4, v0
	;; [unrolled: 1-line block ×4, first 2 shown]
	v_fma_f16 v16, v20, s5, -v16
	v_fma_f16 v22, v21, s5, -v22
	;; [unrolled: 1-line block ×4, first 2 shown]
	v_fma_f16 v20, v5, s13, v23
	v_fma_f16 v21, v3, s13, v24
	v_fma_f16 v4, v4, s3, -v23
	v_fma_f16 v2, v2, s3, -v24
	;; [unrolled: 1-line block ×4, first 2 shown]
	v_add_f16_e32 v14, v14, v6
	v_add_f16_e32 v19, v19, v7
	;; [unrolled: 1-line block ×6, first 2 shown]
	v_fma_f16 v13, v11, s15, v20
	v_fma_f16 v15, v1, s15, v21
	;; [unrolled: 1-line block ×6, first 2 shown]
	v_add_f16_e32 v3, v15, v14
	v_sub_f16_e32 v11, v19, v13
	v_add_f16_e32 v20, v1, v6
	v_sub_f16_e32 v21, v7, v5
	v_sub_f16_e32 v23, v16, v2
	v_add_f16_e32 v24, v4, v22
	v_pack_b32_f16 v0, v12, v0
	v_pack_b32_f16 v3, v3, v11
	v_add_f16_e32 v2, v2, v16
	v_sub_f16_e32 v4, v22, v4
	v_sub_f16_e32 v1, v6, v1
	v_add_f16_e32 v5, v5, v7
	ds_write2_b32 v33, v0, v3 offset1:189
	v_pack_b32_f16 v0, v20, v21
	v_pack_b32_f16 v3, v23, v24
	v_sub_f16_e32 v6, v14, v15
	v_add_f16_e32 v7, v13, v19
	ds_write2_b32 v17, v0, v3 offset0:58 offset1:247
	v_pack_b32_f16 v0, v2, v4
	v_pack_b32_f16 v1, v1, v5
	ds_write2_b32 v18, v0, v1 offset0:52 offset1:241
	v_pack_b32_f16 v0, v6, v7
	ds_write_b32 v33, v0 offset:4536
	s_waitcnt lgkmcnt(0)
	s_barrier
	ds_read2_b32 v[0:1], v33 offset1:189
	s_mov_b32 s12, 0x7a4ab0dc
	s_mov_b32 s13, 0x3f48c498
	v_mad_u64_u32 v[3:4], s[2:3], s10, v10, 0
	s_waitcnt lgkmcnt(0)
	v_lshrrev_b32_e32 v7, 16, v0
	v_mul_f16_sdwa v2, v40, v7 dst_sel:DWORD dst_unused:UNUSED_PAD src0_sel:WORD_1 src1_sel:DWORD
	v_fma_f16 v2, v40, v0, v2
	v_cvt_f32_f16_e32 v2, v2
	s_movk_i32 s10, 0x1ff
	v_mul_f16_sdwa v0, v40, v0 dst_sel:DWORD dst_unused:UNUSED_PAD src0_sel:WORD_1 src1_sel:DWORD
	v_fma_f16 v0, v40, v7, -v0
	v_cvt_f64_f32_e32 v[5:6], v2
	v_mov_b32_e32 v2, v4
	v_mad_u64_u32 v[10:11], s[2:3], s11, v10, v[2:3]
	v_mul_f64 v[5:6], v[5:6], s[12:13]
	s_movk_i32 s11, 0xffe
	v_mov_b32_e32 v4, v10
	v_cvt_f32_f16_e32 v0, v0
	s_movk_i32 s14, 0x40f
	s_mov_b32 s15, 0x8000
	v_lshlrev_b64 v[3:4], 2, v[3:4]
	v_and_or_b32 v2, v6, s10, v5
	v_cmp_ne_u32_e32 vcc, 0, v2
	v_cndmask_b32_e64 v2, 0, 1, vcc
	v_lshrrev_b32_e32 v5, 8, v6
	v_bfe_u32 v10, v6, 20, 11
	v_and_or_b32 v5, v5, s11, v2
	v_sub_u32_e32 v11, 0x3f1, v10
	v_or_b32_e32 v2, 0x1000, v5
	v_med3_i32 v11, v11, 0, 13
	v_lshrrev_b32_e32 v12, v11, v2
	v_lshlrev_b32_e32 v11, v11, v12
	v_cmp_ne_u32_e32 vcc, v11, v2
	v_cndmask_b32_e64 v2, 0, 1, vcc
	v_or_b32_e32 v2, v12, v2
	v_add_u32_e32 v12, 0xfffffc10, v10
	v_lshl_or_b32 v10, v12, 12, v5
	v_cmp_gt_i32_e32 vcc, 1, v12
	v_cndmask_b32_e32 v2, v10, v2, vcc
	v_and_b32_e32 v10, 7, v2
	v_cmp_lt_i32_e32 vcc, 5, v10
	v_cmp_eq_u32_e64 s[2:3], 3, v10
	v_cvt_f64_f32_e32 v[10:11], v0
	v_lshrrev_b32_e32 v2, 2, v2
	s_or_b64 vcc, s[2:3], vcc
	v_addc_co_u32_e32 v7, vcc, 0, v2, vcc
	v_mul_f64 v[10:11], v[10:11], s[12:13]
	v_mov_b32_e32 v2, 0x7c00
	v_cmp_gt_i32_e32 vcc, 31, v12
	v_cndmask_b32_e32 v0, v2, v7, vcc
	v_cmp_ne_u32_e32 vcc, 0, v5
	v_cndmask_b32_e64 v5, 0, 1, vcc
	v_lshl_or_b32 v5, v5, 9, v2
	v_cmp_eq_u32_e32 vcc, s14, v12
	v_cndmask_b32_e32 v0, v0, v5, vcc
	v_lshrrev_b32_e32 v5, 16, v6
	v_and_or_b32 v14, v5, s15, v0
	v_and_or_b32 v0, v11, s10, v10
	v_cmp_ne_u32_e32 vcc, 0, v0
	v_cndmask_b32_e64 v0, 0, 1, vcc
	v_lshrrev_b32_e32 v5, 8, v11
	v_bfe_u32 v6, v11, 20, 11
	v_and_or_b32 v0, v5, s11, v0
	v_sub_u32_e32 v7, 0x3f1, v6
	v_or_b32_e32 v5, 0x1000, v0
	v_med3_i32 v7, v7, 0, 13
	v_lshrrev_b32_e32 v10, v7, v5
	v_lshlrev_b32_e32 v7, v7, v10
	v_cmp_ne_u32_e32 vcc, v7, v5
	v_cndmask_b32_e64 v5, 0, 1, vcc
	v_add_u32_e32 v6, 0xfffffc10, v6
	v_or_b32_e32 v5, v10, v5
	v_lshl_or_b32 v7, v6, 12, v0
	v_cmp_gt_i32_e32 vcc, 1, v6
	v_cndmask_b32_e32 v5, v7, v5, vcc
	v_and_b32_e32 v7, 7, v5
	v_cmp_lt_i32_e32 vcc, 5, v7
	v_cmp_eq_u32_e64 s[2:3], 3, v7
	v_lshrrev_b32_e32 v5, 2, v5
	s_or_b64 vcc, s[2:3], vcc
	v_addc_co_u32_e32 v5, vcc, 0, v5, vcc
	v_cmp_gt_i32_e32 vcc, 31, v6
	v_cndmask_b32_e32 v5, v2, v5, vcc
	v_cmp_ne_u32_e32 vcc, 0, v0
	v_cndmask_b32_e64 v0, 0, 1, vcc
	v_lshl_or_b32 v0, v0, 9, v2
	v_cmp_eq_u32_e32 vcc, s14, v6
	v_cndmask_b32_e32 v10, v5, v0, vcc
	v_add_u32_e32 v0, 0x600, v33
	v_mad_u64_u32 v[5:6], s[2:3], s8, v39, 0
	ds_read2_b32 v[12:13], v0 offset0:57 offset1:246
	v_lshrrev_b32_e32 v11, 16, v11
	v_mov_b32_e32 v0, v6
	v_mad_u64_u32 v[6:7], s[2:3], s9, v39, v[0:1]
	s_waitcnt lgkmcnt(0)
	v_lshrrev_b32_e32 v0, 16, v12
	v_mul_f16_sdwa v7, v38, v0 dst_sel:DWORD dst_unused:UNUSED_PAD src0_sel:WORD_1 src1_sel:DWORD
	v_fma_f16 v7, v38, v12, v7
	v_cvt_f32_f16_e32 v7, v7
	v_and_or_b32 v15, v11, s15, v10
	v_and_b32_e32 v14, 0xffff, v14
	v_mul_f16_sdwa v12, v38, v12 dst_sel:DWORD dst_unused:UNUSED_PAD src0_sel:WORD_1 src1_sel:DWORD
	v_cvt_f64_f32_e32 v[10:11], v7
	v_lshl_or_b32 v7, v15, 16, v14
	v_mov_b32_e32 v14, s7
	v_add_co_u32_e32 v15, vcc, s6, v3
	v_mul_f64 v[10:11], v[10:11], s[12:13]
	v_addc_co_u32_e32 v14, vcc, v14, v4, vcc
	v_lshlrev_b64 v[3:4], 2, v[5:6]
	v_fma_f16 v0, v38, v0, -v12
	v_add_co_u32_e32 v3, vcc, v15, v3
	v_addc_co_u32_e32 v4, vcc, v14, v4, vcc
	v_and_or_b32 v5, v11, s10, v10
	v_cmp_ne_u32_e32 vcc, 0, v5
	v_cndmask_b32_e64 v5, 0, 1, vcc
	v_lshrrev_b32_e32 v6, 8, v11
	global_store_dword v[3:4], v7, off
	v_and_or_b32 v7, v6, s11, v5
	v_bfe_u32 v6, v11, 20, 11
	v_sub_u32_e32 v10, 0x3f1, v6
	v_or_b32_e32 v5, 0x1000, v7
	v_med3_i32 v10, v10, 0, 13
	v_lshrrev_b32_e32 v14, v10, v5
	v_lshlrev_b32_e32 v10, v10, v14
	v_cmp_ne_u32_e32 vcc, v10, v5
	v_cndmask_b32_e64 v5, 0, 1, vcc
	v_add_u32_e32 v10, 0xfffffc10, v6
	v_cvt_f32_f16_e32 v0, v0
	v_or_b32_e32 v5, v14, v5
	v_lshl_or_b32 v6, v10, 12, v7
	v_cmp_gt_i32_e32 vcc, 1, v10
	v_cndmask_b32_e32 v5, v6, v5, vcc
	v_and_b32_e32 v6, 7, v5
	v_cmp_lt_i32_e32 vcc, 5, v6
	v_cmp_eq_u32_e64 s[2:3], 3, v6
	v_lshrrev_b32_e32 v12, 2, v5
	v_cvt_f64_f32_e32 v[5:6], v0
	s_or_b64 vcc, s[2:3], vcc
	v_addc_co_u32_e32 v0, vcc, 0, v12, vcc
	v_mul_f64 v[5:6], v[5:6], s[12:13]
	v_cmp_gt_i32_e32 vcc, 31, v10
	v_cndmask_b32_e32 v0, v2, v0, vcc
	v_cmp_ne_u32_e32 vcc, 0, v7
	v_cndmask_b32_e64 v7, 0, 1, vcc
	v_lshl_or_b32 v7, v7, 9, v2
	v_cmp_eq_u32_e32 vcc, s14, v10
	v_cndmask_b32_e32 v0, v0, v7, vcc
	v_and_or_b32 v5, v6, s10, v5
	v_lshrrev_b32_e32 v7, 16, v11
	v_cmp_ne_u32_e32 vcc, 0, v5
	v_and_or_b32 v0, v7, s15, v0
	v_cndmask_b32_e64 v5, 0, 1, vcc
	v_lshrrev_b32_e32 v7, 8, v6
	v_bfe_u32 v10, v6, 20, 11
	v_and_or_b32 v5, v7, s11, v5
	v_sub_u32_e32 v11, 0x3f1, v10
	v_or_b32_e32 v7, 0x1000, v5
	v_med3_i32 v11, v11, 0, 13
	v_lshrrev_b32_e32 v12, v11, v7
	v_lshlrev_b32_e32 v11, v11, v12
	v_cmp_ne_u32_e32 vcc, v11, v7
	v_cndmask_b32_e64 v7, 0, 1, vcc
	v_or_b32_e32 v7, v12, v7
	v_add_u32_e32 v12, 0xfffffc10, v10
	v_lshl_or_b32 v10, v12, 12, v5
	v_cmp_gt_i32_e32 vcc, 1, v12
	v_cndmask_b32_e32 v7, v10, v7, vcc
	v_and_b32_e32 v10, 7, v7
	v_cmp_lt_i32_e32 vcc, 5, v10
	v_cmp_eq_u32_e64 s[2:3], 3, v10
	v_lshrrev_b32_e32 v7, 2, v7
	s_or_b64 vcc, s[2:3], vcc
	v_add_u32_e32 v10, 0xd00, v33
	v_addc_co_u32_e32 v7, vcc, 0, v7, vcc
	ds_read2_b32 v[10:11], v10 offset0:50 offset1:239
	v_cmp_gt_i32_e32 vcc, 31, v12
	v_cndmask_b32_e32 v7, v2, v7, vcc
	v_cmp_ne_u32_e32 vcc, 0, v5
	v_cndmask_b32_e64 v5, 0, 1, vcc
	v_lshl_or_b32 v5, v5, 9, v2
	v_cmp_eq_u32_e32 vcc, s14, v12
	v_cndmask_b32_e32 v5, v7, v5, vcc
	v_lshrrev_b32_e32 v6, 16, v6
	s_waitcnt lgkmcnt(0)
	v_lshrrev_b32_e32 v12, 16, v10
	v_and_or_b32 v7, v6, s15, v5
	v_mul_f16_sdwa v5, v37, v12 dst_sel:DWORD dst_unused:UNUSED_PAD src0_sel:WORD_1 src1_sel:DWORD
	v_fma_f16 v5, v37, v10, v5
	v_cvt_f32_f16_e32 v5, v5
	s_mul_i32 s2, s9, 0x1b9
	s_mul_hi_u32 s3, s8, 0x1b9
	s_add_i32 s3, s3, s2
	v_cvt_f64_f32_e32 v[5:6], v5
	s_mul_i32 s2, s8, 0x1b9
	v_and_b32_e32 v0, 0xffff, v0
	s_lshl_b64 s[6:7], s[2:3], 2
	v_mul_f64 v[5:6], v[5:6], s[12:13]
	v_lshl_or_b32 v0, v7, 16, v0
	v_mov_b32_e32 v7, s7
	v_add_co_u32_e32 v3, vcc, s6, v3
	v_addc_co_u32_e32 v4, vcc, v4, v7, vcc
	global_store_dword v[3:4], v0, off
	v_and_or_b32 v0, v6, s10, v5
	v_cmp_ne_u32_e32 vcc, 0, v0
	v_cndmask_b32_e64 v0, 0, 1, vcc
	v_lshrrev_b32_e32 v5, 8, v6
	v_bfe_u32 v14, v6, 20, 11
	v_and_or_b32 v0, v5, s11, v0
	v_sub_u32_e32 v15, 0x3f1, v14
	v_or_b32_e32 v5, 0x1000, v0
	v_med3_i32 v15, v15, 0, 13
	v_lshrrev_b32_e32 v16, v15, v5
	v_lshlrev_b32_e32 v15, v15, v16
	v_cmp_ne_u32_e32 vcc, v15, v5
	v_mul_f16_sdwa v10, v37, v10 dst_sel:DWORD dst_unused:UNUSED_PAD src0_sel:WORD_1 src1_sel:DWORD
	v_cndmask_b32_e64 v5, 0, 1, vcc
	v_fma_f16 v10, v37, v12, -v10
	v_or_b32_e32 v5, v16, v5
	v_add_u32_e32 v16, 0xfffffc10, v14
	v_cvt_f32_f16_e32 v10, v10
	v_lshl_or_b32 v14, v16, 12, v0
	v_cmp_gt_i32_e32 vcc, 1, v16
	v_cndmask_b32_e32 v5, v14, v5, vcc
	v_and_b32_e32 v14, 7, v5
	v_cmp_lt_i32_e32 vcc, 5, v14
	v_cmp_eq_u32_e64 s[2:3], 3, v14
	v_cvt_f64_f32_e32 v[14:15], v10
	v_lshrrev_b32_e32 v5, 2, v5
	s_or_b64 vcc, s[2:3], vcc
	v_addc_co_u32_e32 v5, vcc, 0, v5, vcc
	v_mul_f64 v[14:15], v[14:15], s[12:13]
	v_cmp_gt_i32_e32 vcc, 31, v16
	v_cndmask_b32_e32 v5, v2, v5, vcc
	v_cmp_ne_u32_e32 vcc, 0, v0
	v_cndmask_b32_e64 v0, 0, 1, vcc
	v_lshl_or_b32 v0, v0, 9, v2
	v_cmp_eq_u32_e32 vcc, s14, v16
	v_cndmask_b32_e32 v0, v5, v0, vcc
	v_lshrrev_b32_e32 v5, 16, v6
	v_and_or_b32 v0, v5, s15, v0
	v_and_or_b32 v5, v15, s10, v14
	v_cmp_ne_u32_e32 vcc, 0, v5
	v_cndmask_b32_e64 v5, 0, 1, vcc
	v_lshrrev_b32_e32 v6, 8, v15
	v_bfe_u32 v10, v15, 20, 11
	v_and_or_b32 v5, v6, s11, v5
	v_sub_u32_e32 v12, 0x3f1, v10
	v_or_b32_e32 v6, 0x1000, v5
	v_med3_i32 v12, v12, 0, 13
	v_lshrrev_b32_e32 v14, v12, v6
	v_lshlrev_b32_e32 v12, v12, v14
	v_cmp_ne_u32_e32 vcc, v12, v6
	v_cndmask_b32_e64 v6, 0, 1, vcc
	v_add_u32_e32 v10, 0xfffffc10, v10
	v_or_b32_e32 v6, v14, v6
	v_lshl_or_b32 v12, v10, 12, v5
	v_cmp_gt_i32_e32 vcc, 1, v10
	v_cndmask_b32_e32 v6, v12, v6, vcc
	v_and_b32_e32 v12, 7, v6
	v_cmp_lt_i32_e32 vcc, 5, v12
	v_cmp_eq_u32_e64 s[2:3], 3, v12
	v_lshrrev_b32_e32 v6, 2, v6
	s_or_b64 vcc, s[2:3], vcc
	v_addc_co_u32_e32 v6, vcc, 0, v6, vcc
	v_cmp_gt_i32_e32 vcc, 31, v10
	v_lshrrev_b32_e32 v14, 16, v1
	v_cndmask_b32_e32 v12, v2, v6, vcc
	v_mul_f16_sdwa v6, v36, v14 dst_sel:DWORD dst_unused:UNUSED_PAD src0_sel:WORD_1 src1_sel:DWORD
	v_fma_f16 v6, v36, v1, v6
	v_cvt_f32_f16_e32 v6, v6
	v_cmp_ne_u32_e32 vcc, 0, v5
	v_cndmask_b32_e64 v5, 0, 1, vcc
	v_lshl_or_b32 v16, v5, 9, v2
	v_cvt_f64_f32_e32 v[5:6], v6
	v_cmp_eq_u32_e32 vcc, s14, v10
	v_cndmask_b32_e32 v10, v12, v16, vcc
	v_lshrrev_b32_e32 v12, 16, v15
	v_mul_f64 v[5:6], v[5:6], s[12:13]
	v_and_or_b32 v10, v12, s15, v10
	v_and_b32_e32 v0, 0xffff, v0
	v_add_co_u32_e32 v3, vcc, s6, v3
	v_lshl_or_b32 v0, v10, 16, v0
	v_addc_co_u32_e32 v4, vcc, v4, v7, vcc
	global_store_dword v[3:4], v0, off
	v_and_or_b32 v0, v6, s10, v5
	v_cmp_ne_u32_e32 vcc, 0, v0
	v_cndmask_b32_e64 v0, 0, 1, vcc
	v_lshrrev_b32_e32 v5, 8, v6
	v_bfe_u32 v10, v6, 20, 11
	v_and_or_b32 v5, v5, s11, v0
	v_sub_u32_e32 v12, 0x3f1, v10
	v_or_b32_e32 v0, 0x1000, v5
	v_med3_i32 v12, v12, 0, 13
	v_lshrrev_b32_e32 v15, v12, v0
	v_lshlrev_b32_e32 v12, v12, v15
	v_mul_f16_sdwa v1, v36, v1 dst_sel:DWORD dst_unused:UNUSED_PAD src0_sel:WORD_1 src1_sel:DWORD
	v_cmp_ne_u32_e32 vcc, v12, v0
	v_fma_f16 v1, v36, v14, -v1
	v_cndmask_b32_e64 v0, 0, 1, vcc
	v_add_u32_e32 v10, 0xfffffc10, v10
	v_cvt_f32_f16_e32 v1, v1
	v_or_b32_e32 v0, v15, v0
	v_lshl_or_b32 v12, v10, 12, v5
	v_cmp_gt_i32_e32 vcc, 1, v10
	v_cndmask_b32_e32 v0, v12, v0, vcc
	v_and_b32_e32 v12, 7, v0
	v_cmp_lt_i32_e32 vcc, 5, v12
	v_cmp_eq_u32_e64 s[2:3], 3, v12
	v_lshrrev_b32_e32 v12, 2, v0
	v_cvt_f64_f32_e32 v[0:1], v1
	s_or_b64 vcc, s[2:3], vcc
	v_addc_co_u32_e32 v12, vcc, 0, v12, vcc
	v_mul_f64 v[0:1], v[0:1], s[12:13]
	v_cmp_gt_i32_e32 vcc, 31, v10
	v_cndmask_b32_e32 v12, v2, v12, vcc
	v_cmp_ne_u32_e32 vcc, 0, v5
	v_cndmask_b32_e64 v5, 0, 1, vcc
	v_lshl_or_b32 v5, v5, 9, v2
	v_cmp_eq_u32_e32 vcc, s14, v10
	v_cndmask_b32_e32 v5, v12, v5, vcc
	v_and_or_b32 v0, v1, s10, v0
	v_lshrrev_b32_e32 v6, 16, v6
	v_cmp_ne_u32_e32 vcc, 0, v0
	v_and_or_b32 v5, v6, s15, v5
	v_cndmask_b32_e64 v0, 0, 1, vcc
	v_lshrrev_b32_e32 v6, 8, v1
	v_bfe_u32 v10, v1, 20, 11
	v_and_or_b32 v0, v6, s11, v0
	v_sub_u32_e32 v12, 0x3f1, v10
	v_or_b32_e32 v6, 0x1000, v0
	v_med3_i32 v12, v12, 0, 13
	v_lshrrev_b32_e32 v14, v12, v6
	v_lshlrev_b32_e32 v12, v12, v14
	v_cmp_ne_u32_e32 vcc, v12, v6
	v_cndmask_b32_e64 v6, 0, 1, vcc
	v_add_u32_e32 v10, 0xfffffc10, v10
	v_or_b32_e32 v6, v14, v6
	v_lshl_or_b32 v12, v10, 12, v0
	v_cmp_gt_i32_e32 vcc, 1, v10
	v_cndmask_b32_e32 v6, v12, v6, vcc
	v_and_b32_e32 v12, 7, v6
	v_cmp_lt_i32_e32 vcc, 5, v12
	v_cmp_eq_u32_e64 s[2:3], 3, v12
	v_lshrrev_b32_e32 v6, 2, v6
	s_or_b64 vcc, s[2:3], vcc
	v_addc_co_u32_e32 v6, vcc, 0, v6, vcc
	v_cmp_gt_i32_e32 vcc, 31, v10
	v_cndmask_b32_e32 v6, v2, v6, vcc
	v_cmp_ne_u32_e32 vcc, 0, v0
	v_cndmask_b32_e64 v0, 0, 1, vcc
	v_lshl_or_b32 v0, v0, 9, v2
	v_cmp_eq_u32_e32 vcc, s14, v10
	v_cndmask_b32_e32 v0, v6, v0, vcc
	v_lshrrev_b32_e32 v1, 16, v1
	v_lshrrev_b32_e32 v10, 16, v13
	v_and_or_b32 v6, v1, s15, v0
	v_mul_f16_sdwa v0, v35, v10 dst_sel:DWORD dst_unused:UNUSED_PAD src0_sel:WORD_1 src1_sel:DWORD
	v_fma_f16 v0, v35, v13, v0
	v_cvt_f32_f16_e32 v0, v0
	s_mul_hi_u32 s3, s8, 0xfffffd4b
	s_mul_i32 s2, s9, 0xfffffd4b
	s_sub_i32 s3, s3, s8
	v_cvt_f64_f32_e32 v[0:1], v0
	s_add_i32 s3, s3, s2
	s_mul_i32 s2, s8, 0xfffffd4b
	v_and_b32_e32 v5, 0xffff, v5
	v_mul_f64 v[0:1], v[0:1], s[12:13]
	s_lshl_b64 s[4:5], s[2:3], 2
	v_lshl_or_b32 v5, v6, 16, v5
	v_mov_b32_e32 v6, s5
	v_add_co_u32_e32 v3, vcc, s4, v3
	v_addc_co_u32_e32 v4, vcc, v4, v6, vcc
	v_and_or_b32 v0, v1, s10, v0
	v_cmp_ne_u32_e32 vcc, 0, v0
	global_store_dword v[3:4], v5, off
	v_cndmask_b32_e64 v0, 0, 1, vcc
	v_lshrrev_b32_e32 v5, 8, v1
	v_bfe_u32 v6, v1, 20, 11
	v_and_or_b32 v0, v5, s11, v0
	v_sub_u32_e32 v12, 0x3f1, v6
	v_or_b32_e32 v5, 0x1000, v0
	v_med3_i32 v12, v12, 0, 13
	v_lshrrev_b32_e32 v14, v12, v5
	v_lshlrev_b32_e32 v12, v12, v14
	v_mul_f16_sdwa v13, v35, v13 dst_sel:DWORD dst_unused:UNUSED_PAD src0_sel:WORD_1 src1_sel:DWORD
	v_cmp_ne_u32_e32 vcc, v12, v5
	v_fma_f16 v10, v35, v10, -v13
	v_cndmask_b32_e64 v5, 0, 1, vcc
	v_add_u32_e32 v12, 0xfffffc10, v6
	v_cvt_f32_f16_e32 v10, v10
	v_or_b32_e32 v5, v14, v5
	v_lshl_or_b32 v6, v12, 12, v0
	v_cmp_gt_i32_e32 vcc, 1, v12
	v_cndmask_b32_e32 v5, v6, v5, vcc
	v_and_b32_e32 v6, 7, v5
	v_cmp_lt_i32_e32 vcc, 5, v6
	v_cmp_eq_u32_e64 s[2:3], 3, v6
	v_lshrrev_b32_e32 v13, 2, v5
	v_cvt_f64_f32_e32 v[5:6], v10
	s_or_b64 vcc, s[2:3], vcc
	v_addc_co_u32_e32 v10, vcc, 0, v13, vcc
	v_mul_f64 v[5:6], v[5:6], s[12:13]
	v_cmp_gt_i32_e32 vcc, 31, v12
	v_cndmask_b32_e32 v10, v2, v10, vcc
	v_cmp_ne_u32_e32 vcc, 0, v0
	v_cndmask_b32_e64 v0, 0, 1, vcc
	v_lshl_or_b32 v0, v0, 9, v2
	v_cmp_eq_u32_e32 vcc, s14, v12
	v_cndmask_b32_e32 v0, v10, v0, vcc
	v_lshrrev_b32_e32 v1, 16, v1
	v_and_or_b32 v10, v1, s15, v0
	v_and_or_b32 v0, v6, s10, v5
	v_cmp_ne_u32_e32 vcc, 0, v0
	v_cndmask_b32_e64 v0, 0, 1, vcc
	v_lshrrev_b32_e32 v1, 8, v6
	v_bfe_u32 v5, v6, 20, 11
	v_and_or_b32 v0, v1, s11, v0
	v_sub_u32_e32 v12, 0x3f1, v5
	v_or_b32_e32 v1, 0x1000, v0
	v_med3_i32 v12, v12, 0, 13
	v_lshrrev_b32_e32 v13, v12, v1
	v_lshlrev_b32_e32 v12, v12, v13
	v_cmp_ne_u32_e32 vcc, v12, v1
	v_cndmask_b32_e64 v1, 0, 1, vcc
	v_add_u32_e32 v5, 0xfffffc10, v5
	v_or_b32_e32 v1, v13, v1
	v_lshl_or_b32 v12, v5, 12, v0
	v_cmp_gt_i32_e32 vcc, 1, v5
	v_cndmask_b32_e32 v1, v12, v1, vcc
	v_and_b32_e32 v12, 7, v1
	v_cmp_lt_i32_e32 vcc, 5, v12
	v_cmp_eq_u32_e64 s[2:3], 3, v12
	v_lshrrev_b32_e32 v1, 2, v1
	s_or_b64 vcc, s[2:3], vcc
	v_addc_co_u32_e32 v1, vcc, 0, v1, vcc
	v_cmp_gt_i32_e32 vcc, 31, v5
	v_lshrrev_b32_e32 v13, 16, v11
	v_cndmask_b32_e32 v12, v2, v1, vcc
	v_mul_f16_sdwa v1, v34, v13 dst_sel:DWORD dst_unused:UNUSED_PAD src0_sel:WORD_1 src1_sel:DWORD
	v_fma_f16 v1, v34, v11, v1
	v_cvt_f32_f16_e32 v1, v1
	v_cmp_ne_u32_e32 vcc, 0, v0
	v_cndmask_b32_e64 v0, 0, 1, vcc
	v_lshl_or_b32 v14, v0, 9, v2
	v_cvt_f64_f32_e32 v[0:1], v1
	v_cmp_eq_u32_e32 vcc, s14, v5
	v_cndmask_b32_e32 v5, v12, v14, vcc
	v_lshrrev_b32_e32 v6, 16, v6
	v_mul_f64 v[0:1], v[0:1], s[12:13]
	v_add_co_u32_e32 v3, vcc, s6, v3
	v_and_or_b32 v5, v6, s15, v5
	v_and_b32_e32 v6, 0xffff, v10
	v_addc_co_u32_e32 v4, vcc, v4, v7, vcc
	v_lshl_or_b32 v5, v5, 16, v6
	v_and_or_b32 v0, v1, s10, v0
	v_cmp_ne_u32_e32 vcc, 0, v0
	global_store_dword v[3:4], v5, off
	v_cndmask_b32_e64 v0, 0, 1, vcc
	v_lshrrev_b32_e32 v5, 8, v1
	v_bfe_u32 v6, v1, 20, 11
	v_and_or_b32 v0, v5, s11, v0
	v_sub_u32_e32 v10, 0x3f1, v6
	v_or_b32_e32 v5, 0x1000, v0
	v_med3_i32 v10, v10, 0, 13
	v_lshrrev_b32_e32 v12, v10, v5
	v_lshlrev_b32_e32 v10, v10, v12
	v_mul_f16_sdwa v11, v34, v11 dst_sel:DWORD dst_unused:UNUSED_PAD src0_sel:WORD_1 src1_sel:DWORD
	v_cmp_ne_u32_e32 vcc, v10, v5
	v_fma_f16 v11, v34, v13, -v11
	v_cndmask_b32_e64 v5, 0, 1, vcc
	v_add_u32_e32 v10, 0xfffffc10, v6
	v_cvt_f32_f16_e32 v11, v11
	v_or_b32_e32 v5, v12, v5
	v_lshl_or_b32 v6, v10, 12, v0
	v_cmp_gt_i32_e32 vcc, 1, v10
	v_cndmask_b32_e32 v5, v6, v5, vcc
	v_and_b32_e32 v6, 7, v5
	v_cmp_lt_i32_e32 vcc, 5, v6
	v_cmp_eq_u32_e64 s[2:3], 3, v6
	v_lshrrev_b32_e32 v12, 2, v5
	v_cvt_f64_f32_e32 v[5:6], v11
	s_or_b64 vcc, s[2:3], vcc
	v_addc_co_u32_e32 v11, vcc, 0, v12, vcc
	v_mul_f64 v[5:6], v[5:6], s[12:13]
	v_cmp_gt_i32_e32 vcc, 31, v10
	v_cndmask_b32_e32 v11, v2, v11, vcc
	v_cmp_ne_u32_e32 vcc, 0, v0
	v_cndmask_b32_e64 v0, 0, 1, vcc
	v_lshl_or_b32 v0, v0, 9, v2
	v_cmp_eq_u32_e32 vcc, s14, v10
	v_cndmask_b32_e32 v0, v11, v0, vcc
	v_lshrrev_b32_e32 v1, 16, v1
	v_and_or_b32 v0, v1, s15, v0
	v_and_or_b32 v1, v6, s10, v5
	v_cmp_ne_u32_e32 vcc, 0, v1
	v_cndmask_b32_e64 v1, 0, 1, vcc
	v_lshrrev_b32_e32 v5, 8, v6
	v_bfe_u32 v10, v6, 20, 11
	v_and_or_b32 v1, v5, s11, v1
	v_sub_u32_e32 v11, 0x3f1, v10
	v_or_b32_e32 v5, 0x1000, v1
	v_med3_i32 v11, v11, 0, 13
	v_lshrrev_b32_e32 v12, v11, v5
	v_lshlrev_b32_e32 v11, v11, v12
	v_cmp_ne_u32_e32 vcc, v11, v5
	v_cndmask_b32_e64 v5, 0, 1, vcc
	v_add_u32_e32 v10, 0xfffffc10, v10
	v_or_b32_e32 v5, v12, v5
	v_lshl_or_b32 v11, v10, 12, v1
	v_cmp_gt_i32_e32 vcc, 1, v10
	v_cndmask_b32_e32 v5, v11, v5, vcc
	v_and_b32_e32 v11, 7, v5
	v_cmp_lt_i32_e32 vcc, 5, v11
	v_cmp_eq_u32_e64 s[2:3], 3, v11
	v_lshrrev_b32_e32 v5, 2, v5
	s_or_b64 vcc, s[2:3], vcc
	v_addc_co_u32_e32 v5, vcc, 0, v5, vcc
	v_cmp_gt_i32_e32 vcc, 31, v10
	v_cndmask_b32_e32 v5, v2, v5, vcc
	v_cmp_ne_u32_e32 vcc, 0, v1
	v_cndmask_b32_e64 v1, 0, 1, vcc
	v_lshl_or_b32 v1, v1, 9, v2
	v_cmp_eq_u32_e32 vcc, s14, v10
	v_cndmask_b32_e32 v1, v5, v1, vcc
	v_lshrrev_b32_e32 v5, 16, v6
	v_and_or_b32 v1, v5, s15, v1
	v_and_b32_e32 v0, 0xffff, v0
	v_lshl_or_b32 v5, v1, 16, v0
	v_add_co_u32_e32 v0, vcc, s6, v3
	v_addc_co_u32_e32 v1, vcc, v4, v7, vcc
	global_store_dword v[0:1], v5, off
	s_and_b64 exec, exec, s[0:1]
	s_cbranch_execz .LBB0_31
; %bb.30:
	global_load_dword v3, v[8:9], off offset:1512
	global_load_dword v11, v[8:9], off offset:3276
	ds_read_b32 v4, v33 offset:1512
	ds_read_b32 v12, v33 offset:3276
	v_mov_b32_e32 v13, s5
	ds_read_b32 v14, v33 offset:5040
	s_waitcnt lgkmcnt(2)
	v_lshrrev_b32_e32 v5, 16, v4
	s_waitcnt lgkmcnt(1)
	v_lshrrev_b32_e32 v15, 16, v12
	s_waitcnt vmcnt(1)
	v_mul_f16_sdwa v6, v5, v3 dst_sel:DWORD dst_unused:UNUSED_PAD src0_sel:DWORD src1_sel:WORD_1
	v_mul_f16_sdwa v7, v4, v3 dst_sel:DWORD dst_unused:UNUSED_PAD src0_sel:DWORD src1_sel:WORD_1
	v_fma_f16 v4, v4, v3, v6
	v_fma_f16 v3, v3, v5, -v7
	v_add_co_u32_e32 v7, vcc, s16, v8
	v_addc_co_u32_e32 v8, vcc, 0, v9, vcc
	v_add_co_u32_e32 v0, vcc, s4, v0
	v_addc_co_u32_e32 v1, vcc, v1, v13, vcc
	global_load_dword v13, v[7:8], off offset:944
	s_waitcnt vmcnt(1)
	v_mul_f16_sdwa v10, v15, v11 dst_sel:DWORD dst_unused:UNUSED_PAD src0_sel:DWORD src1_sel:WORD_1
	v_cvt_f32_f16_e32 v4, v4
	v_cvt_f32_f16_e32 v5, v3
	v_fma_f16 v3, v12, v11, v10
	v_cvt_f32_f16_e32 v10, v3
	v_cvt_f64_f32_e32 v[3:4], v4
	v_cvt_f64_f32_e32 v[5:6], v5
	;; [unrolled: 1-line block ×3, first 2 shown]
	v_mul_f64 v[3:4], v[3:4], s[12:13]
	v_mul_f64 v[5:6], v[5:6], s[12:13]
	;; [unrolled: 1-line block ×3, first 2 shown]
	v_and_or_b32 v3, v4, s10, v3
	v_and_or_b32 v5, v6, s10, v5
	v_cmp_ne_u32_e32 vcc, 0, v3
	v_lshrrev_b32_e32 v9, 8, v4
	v_bfe_u32 v10, v4, 20, 11
	v_and_or_b32 v7, v8, s10, v7
	v_cndmask_b32_e64 v3, 0, 1, vcc
	v_cmp_ne_u32_e32 vcc, 0, v5
	v_lshrrev_b32_e32 v16, 8, v6
	v_bfe_u32 v17, v6, 20, 11
	v_bfe_u32 v19, v8, 20, 11
	v_sub_u32_e32 v20, 0x3f1, v10
	v_cndmask_b32_e64 v5, 0, 1, vcc
	v_cmp_ne_u32_e32 vcc, 0, v7
	v_and_or_b32 v3, v9, s11, v3
	v_lshrrev_b32_e32 v18, 8, v8
	v_sub_u32_e32 v21, 0x3f1, v17
	v_cndmask_b32_e64 v7, 0, 1, vcc
	v_sub_u32_e32 v22, 0x3f1, v19
	v_med3_i32 v9, v20, 0, 13
	v_and_or_b32 v5, v16, s11, v5
	v_or_b32_e32 v20, 0x1000, v3
	v_add_u32_e32 v10, 0xfffffc10, v10
	v_med3_i32 v16, v21, 0, 13
	v_and_or_b32 v7, v18, s11, v7
	v_med3_i32 v18, v22, 0, 13
	v_cmp_ne_u32_e32 vcc, 0, v3
	v_or_b32_e32 v22, 0x1000, v5
	v_lshrrev_b32_e32 v25, v9, v20
	v_add_u32_e32 v17, 0xfffffc10, v17
	v_lshl_or_b32 v21, v10, 12, v3
	v_cndmask_b32_e64 v3, 0, 1, vcc
	v_cmp_ne_u32_e32 vcc, 0, v5
	v_or_b32_e32 v24, 0x1000, v7
	v_lshrrev_b32_e32 v26, v16, v22
	v_lshlrev_b32_e32 v9, v9, v25
	v_lshl_or_b32 v23, v17, 12, v5
	v_cndmask_b32_e64 v5, 0, 1, vcc
	v_lshrrev_b32_e32 v27, v18, v24
	v_lshlrev_b32_e32 v16, v16, v26
	v_cmp_ne_u32_e32 vcc, v9, v20
	v_lshlrev_b32_e32 v18, v18, v27
	v_cndmask_b32_e64 v9, 0, 1, vcc
	v_cmp_ne_u32_e32 vcc, v16, v22
	v_cndmask_b32_e64 v16, 0, 1, vcc
	v_cmp_ne_u32_e32 vcc, v18, v24
	v_cndmask_b32_e64 v18, 0, 1, vcc
	v_or_b32_e32 v9, v25, v9
	v_cmp_gt_i32_e32 vcc, 1, v10
	v_cndmask_b32_e32 v9, v21, v9, vcc
	v_or_b32_e32 v16, v26, v16
	v_cmp_gt_i32_e32 vcc, 1, v17
	v_and_b32_e32 v20, 7, v9
	v_cndmask_b32_e32 v16, v23, v16, vcc
	v_cmp_lt_i32_e32 vcc, 5, v20
	v_cmp_eq_u32_e64 s[0:1], 3, v20
	v_lshrrev_b32_e32 v9, 2, v9
	v_and_b32_e32 v21, 7, v16
	s_or_b64 vcc, s[0:1], vcc
	v_cmp_lt_i32_e64 s[2:3], 5, v21
	v_cmp_eq_u32_e64 s[4:5], 3, v21
	v_addc_co_u32_e32 v9, vcc, 0, v9, vcc
	v_lshrrev_b32_e32 v16, 2, v16
	s_or_b64 vcc, s[4:5], s[2:3]
	v_addc_co_u32_e32 v16, vcc, 0, v16, vcc
	v_cmp_gt_i32_e32 vcc, 31, v10
	v_cndmask_b32_e32 v9, v2, v9, vcc
	v_cmp_gt_i32_e32 vcc, 31, v17
	v_lshl_or_b32 v3, v3, 9, v2
	v_cndmask_b32_e32 v16, v2, v16, vcc
	v_cmp_eq_u32_e32 vcc, s14, v10
	v_lshl_or_b32 v5, v5, 9, v2
	v_cndmask_b32_e32 v3, v9, v3, vcc
	v_cmp_eq_u32_e32 vcc, s14, v17
	v_lshrrev_b32_e32 v4, 16, v4
	v_lshrrev_b32_e32 v6, 16, v6
	v_cndmask_b32_e32 v5, v16, v5, vcc
	v_and_or_b32 v3, v4, s15, v3
	v_and_or_b32 v4, v6, s15, v5
	v_mul_f16_sdwa v6, v12, v11 dst_sel:DWORD dst_unused:UNUSED_PAD src0_sel:DWORD src1_sel:WORD_1
	v_and_b32_e32 v3, 0xffff, v3
	v_fma_f16 v6, v11, v15, -v6
	v_lshl_or_b32 v3, v4, 16, v3
	v_add_u32_e32 v5, 0xfffffc10, v19
	v_cvt_f32_f16_e32 v6, v6
	global_store_dword v[0:1], v3, off
	v_or_b32_e32 v3, v27, v18
	v_lshl_or_b32 v4, v5, 12, v7
	v_cmp_gt_i32_e32 vcc, 1, v5
	v_cndmask_b32_e32 v3, v4, v3, vcc
	v_and_b32_e32 v4, 7, v3
	v_cmp_lt_i32_e32 vcc, 5, v4
	v_cmp_eq_u32_e64 s[0:1], 3, v4
	v_lshrrev_b32_e32 v9, 2, v3
	v_cvt_f64_f32_e32 v[3:4], v6
	s_or_b64 vcc, s[0:1], vcc
	v_addc_co_u32_e32 v6, vcc, 0, v9, vcc
	v_mul_f64 v[3:4], v[3:4], s[12:13]
	v_cmp_gt_i32_e32 vcc, 31, v5
	v_cndmask_b32_e32 v6, v2, v6, vcc
	v_cmp_ne_u32_e32 vcc, 0, v7
	v_cndmask_b32_e64 v7, 0, 1, vcc
	v_lshl_or_b32 v7, v7, 9, v2
	v_cmp_eq_u32_e32 vcc, s14, v5
	v_cndmask_b32_e32 v5, v6, v7, vcc
	v_and_or_b32 v3, v4, s10, v3
	v_lshrrev_b32_e32 v6, 16, v8
	v_cmp_ne_u32_e32 vcc, 0, v3
	v_and_or_b32 v7, v6, s15, v5
	v_cndmask_b32_e64 v3, 0, 1, vcc
	v_lshrrev_b32_e32 v5, 8, v4
	v_bfe_u32 v6, v4, 20, 11
	v_and_or_b32 v3, v5, s11, v3
	v_sub_u32_e32 v8, 0x3f1, v6
	v_or_b32_e32 v5, 0x1000, v3
	v_med3_i32 v8, v8, 0, 13
	v_lshrrev_b32_e32 v9, v8, v5
	v_lshlrev_b32_e32 v8, v8, v9
	v_cmp_ne_u32_e32 vcc, v8, v5
	v_cndmask_b32_e64 v5, 0, 1, vcc
	v_add_u32_e32 v6, 0xfffffc10, v6
	v_or_b32_e32 v5, v9, v5
	v_lshl_or_b32 v8, v6, 12, v3
	v_cmp_gt_i32_e32 vcc, 1, v6
	v_cndmask_b32_e32 v5, v8, v5, vcc
	v_and_b32_e32 v8, 7, v5
	v_cmp_lt_i32_e32 vcc, 5, v8
	v_cmp_eq_u32_e64 s[0:1], 3, v8
	s_waitcnt lgkmcnt(0)
	v_lshrrev_b32_e32 v8, 16, v14
	v_lshrrev_b32_e32 v5, 2, v5
	s_or_b64 vcc, s[0:1], vcc
	s_waitcnt vmcnt(1)
	v_mul_f16_sdwa v9, v8, v13 dst_sel:DWORD dst_unused:UNUSED_PAD src0_sel:DWORD src1_sel:WORD_1
	v_addc_co_u32_e32 v5, vcc, 0, v5, vcc
	v_fma_f16 v9, v14, v13, v9
	v_cmp_gt_i32_e32 vcc, 31, v6
	v_cvt_f32_f16_e32 v9, v9
	v_cndmask_b32_e32 v5, v2, v5, vcc
	v_cmp_ne_u32_e32 vcc, 0, v3
	v_cndmask_b32_e64 v3, 0, 1, vcc
	v_lshl_or_b32 v3, v3, 9, v2
	v_cmp_eq_u32_e32 vcc, s14, v6
	v_cndmask_b32_e32 v3, v5, v3, vcc
	v_cvt_f64_f32_e32 v[5:6], v9
	v_lshrrev_b32_e32 v4, 16, v4
	v_and_or_b32 v9, v4, s15, v3
	v_and_b32_e32 v7, 0xffff, v7
	v_mul_f64 v[3:4], v[5:6], s[12:13]
	v_lshl_or_b32 v5, v9, 16, v7
	v_mov_b32_e32 v7, s7
	v_add_co_u32_e32 v0, vcc, s6, v0
	v_addc_co_u32_e32 v1, vcc, v1, v7, vcc
	global_store_dword v[0:1], v5, off
	v_and_or_b32 v3, v4, s10, v3
	v_cmp_ne_u32_e32 vcc, 0, v3
	v_cndmask_b32_e64 v3, 0, 1, vcc
	v_lshrrev_b32_e32 v5, 8, v4
	v_bfe_u32 v6, v4, 20, 11
	v_and_or_b32 v3, v5, s11, v3
	v_sub_u32_e32 v9, 0x3f1, v6
	v_or_b32_e32 v5, 0x1000, v3
	v_med3_i32 v9, v9, 0, 13
	v_lshrrev_b32_e32 v10, v9, v5
	v_lshlrev_b32_e32 v9, v9, v10
	v_cmp_ne_u32_e32 vcc, v9, v5
	v_cndmask_b32_e64 v5, 0, 1, vcc
	v_or_b32_e32 v5, v10, v5
	v_mul_f16_sdwa v10, v14, v13 dst_sel:DWORD dst_unused:UNUSED_PAD src0_sel:DWORD src1_sel:WORD_1
	v_fma_f16 v8, v13, v8, -v10
	v_add_u32_e32 v9, 0xfffffc10, v6
	v_cvt_f32_f16_e32 v8, v8
	v_lshl_or_b32 v6, v9, 12, v3
	v_cmp_gt_i32_e32 vcc, 1, v9
	v_cndmask_b32_e32 v5, v6, v5, vcc
	v_and_b32_e32 v6, 7, v5
	v_cmp_lt_i32_e32 vcc, 5, v6
	v_cmp_eq_u32_e64 s[0:1], 3, v6
	v_lshrrev_b32_e32 v10, 2, v5
	v_cvt_f64_f32_e32 v[5:6], v8
	s_or_b64 vcc, s[0:1], vcc
	v_addc_co_u32_e32 v8, vcc, 0, v10, vcc
	v_mul_f64 v[5:6], v[5:6], s[12:13]
	v_cmp_gt_i32_e32 vcc, 31, v9
	v_cndmask_b32_e32 v8, v2, v8, vcc
	v_cmp_ne_u32_e32 vcc, 0, v3
	v_cndmask_b32_e64 v3, 0, 1, vcc
	v_lshl_or_b32 v3, v3, 9, v2
	v_cmp_eq_u32_e32 vcc, s14, v9
	v_cndmask_b32_e32 v3, v8, v3, vcc
	v_lshrrev_b32_e32 v4, 16, v4
	v_and_or_b32 v3, v4, s15, v3
	v_and_or_b32 v4, v6, s10, v5
	v_cmp_ne_u32_e32 vcc, 0, v4
	v_cndmask_b32_e64 v4, 0, 1, vcc
	v_lshrrev_b32_e32 v5, 8, v6
	v_bfe_u32 v8, v6, 20, 11
	v_and_or_b32 v4, v5, s11, v4
	v_sub_u32_e32 v9, 0x3f1, v8
	v_or_b32_e32 v5, 0x1000, v4
	v_med3_i32 v9, v9, 0, 13
	v_lshrrev_b32_e32 v10, v9, v5
	v_lshlrev_b32_e32 v9, v9, v10
	v_cmp_ne_u32_e32 vcc, v9, v5
	v_cndmask_b32_e64 v5, 0, 1, vcc
	v_add_u32_e32 v8, 0xfffffc10, v8
	v_or_b32_e32 v5, v10, v5
	v_lshl_or_b32 v9, v8, 12, v4
	v_cmp_gt_i32_e32 vcc, 1, v8
	v_cndmask_b32_e32 v5, v9, v5, vcc
	v_and_b32_e32 v9, 7, v5
	v_cmp_lt_i32_e32 vcc, 5, v9
	v_cmp_eq_u32_e64 s[0:1], 3, v9
	v_lshrrev_b32_e32 v5, 2, v5
	s_or_b64 vcc, s[0:1], vcc
	v_addc_co_u32_e32 v5, vcc, 0, v5, vcc
	v_cmp_gt_i32_e32 vcc, 31, v8
	v_cndmask_b32_e32 v5, v2, v5, vcc
	v_cmp_ne_u32_e32 vcc, 0, v4
	v_cndmask_b32_e64 v4, 0, 1, vcc
	v_lshl_or_b32 v2, v4, 9, v2
	v_cmp_eq_u32_e32 vcc, s14, v8
	v_cndmask_b32_e32 v2, v5, v2, vcc
	v_lshrrev_b32_e32 v4, 16, v6
	v_and_or_b32 v2, v4, s15, v2
	v_and_b32_e32 v3, 0xffff, v3
	v_add_co_u32_e32 v0, vcc, s6, v0
	v_lshl_or_b32 v2, v2, 16, v3
	v_addc_co_u32_e32 v1, vcc, v1, v7, vcc
	global_store_dword v[0:1], v2, off
.LBB0_31:
	s_endpgm
	.section	.rodata,"a",@progbits
	.p2align	6, 0x0
	.amdhsa_kernel bluestein_single_back_len1323_dim1_half_op_CI_CI
		.amdhsa_group_segment_fixed_size 5292
		.amdhsa_private_segment_fixed_size 0
		.amdhsa_kernarg_size 104
		.amdhsa_user_sgpr_count 6
		.amdhsa_user_sgpr_private_segment_buffer 1
		.amdhsa_user_sgpr_dispatch_ptr 0
		.amdhsa_user_sgpr_queue_ptr 0
		.amdhsa_user_sgpr_kernarg_segment_ptr 1
		.amdhsa_user_sgpr_dispatch_id 0
		.amdhsa_user_sgpr_flat_scratch_init 0
		.amdhsa_user_sgpr_private_segment_size 0
		.amdhsa_uses_dynamic_stack 0
		.amdhsa_system_sgpr_private_segment_wavefront_offset 0
		.amdhsa_system_sgpr_workgroup_id_x 1
		.amdhsa_system_sgpr_workgroup_id_y 0
		.amdhsa_system_sgpr_workgroup_id_z 0
		.amdhsa_system_sgpr_workgroup_info 0
		.amdhsa_system_vgpr_workitem_id 0
		.amdhsa_next_free_vgpr 74
		.amdhsa_next_free_sgpr 21
		.amdhsa_reserve_vcc 1
		.amdhsa_reserve_flat_scratch 0
		.amdhsa_float_round_mode_32 0
		.amdhsa_float_round_mode_16_64 0
		.amdhsa_float_denorm_mode_32 3
		.amdhsa_float_denorm_mode_16_64 3
		.amdhsa_dx10_clamp 1
		.amdhsa_ieee_mode 1
		.amdhsa_fp16_overflow 0
		.amdhsa_exception_fp_ieee_invalid_op 0
		.amdhsa_exception_fp_denorm_src 0
		.amdhsa_exception_fp_ieee_div_zero 0
		.amdhsa_exception_fp_ieee_overflow 0
		.amdhsa_exception_fp_ieee_underflow 0
		.amdhsa_exception_fp_ieee_inexact 0
		.amdhsa_exception_int_div_zero 0
	.end_amdhsa_kernel
	.text
.Lfunc_end0:
	.size	bluestein_single_back_len1323_dim1_half_op_CI_CI, .Lfunc_end0-bluestein_single_back_len1323_dim1_half_op_CI_CI
                                        ; -- End function
	.section	.AMDGPU.csdata,"",@progbits
; Kernel info:
; codeLenInByte = 14052
; NumSgprs: 25
; NumVgprs: 74
; ScratchSize: 0
; MemoryBound: 0
; FloatMode: 240
; IeeeMode: 1
; LDSByteSize: 5292 bytes/workgroup (compile time only)
; SGPRBlocks: 3
; VGPRBlocks: 18
; NumSGPRsForWavesPerEU: 25
; NumVGPRsForWavesPerEU: 74
; Occupancy: 3
; WaveLimiterHint : 1
; COMPUTE_PGM_RSRC2:SCRATCH_EN: 0
; COMPUTE_PGM_RSRC2:USER_SGPR: 6
; COMPUTE_PGM_RSRC2:TRAP_HANDLER: 0
; COMPUTE_PGM_RSRC2:TGID_X_EN: 1
; COMPUTE_PGM_RSRC2:TGID_Y_EN: 0
; COMPUTE_PGM_RSRC2:TGID_Z_EN: 0
; COMPUTE_PGM_RSRC2:TIDIG_COMP_CNT: 0
	.type	__hip_cuid_422bd8911108458a,@object ; @__hip_cuid_422bd8911108458a
	.section	.bss,"aw",@nobits
	.globl	__hip_cuid_422bd8911108458a
__hip_cuid_422bd8911108458a:
	.byte	0                               ; 0x0
	.size	__hip_cuid_422bd8911108458a, 1

	.ident	"AMD clang version 19.0.0git (https://github.com/RadeonOpenCompute/llvm-project roc-6.4.0 25133 c7fe45cf4b819c5991fe208aaa96edf142730f1d)"
	.section	".note.GNU-stack","",@progbits
	.addrsig
	.addrsig_sym __hip_cuid_422bd8911108458a
	.amdgpu_metadata
---
amdhsa.kernels:
  - .args:
      - .actual_access:  read_only
        .address_space:  global
        .offset:         0
        .size:           8
        .value_kind:     global_buffer
      - .actual_access:  read_only
        .address_space:  global
        .offset:         8
        .size:           8
        .value_kind:     global_buffer
      - .actual_access:  read_only
        .address_space:  global
        .offset:         16
        .size:           8
        .value_kind:     global_buffer
      - .actual_access:  read_only
        .address_space:  global
        .offset:         24
        .size:           8
        .value_kind:     global_buffer
      - .actual_access:  read_only
        .address_space:  global
        .offset:         32
        .size:           8
        .value_kind:     global_buffer
      - .offset:         40
        .size:           8
        .value_kind:     by_value
      - .address_space:  global
        .offset:         48
        .size:           8
        .value_kind:     global_buffer
      - .address_space:  global
        .offset:         56
        .size:           8
        .value_kind:     global_buffer
      - .address_space:  global
        .offset:         64
        .size:           8
        .value_kind:     global_buffer
      - .address_space:  global
        .offset:         72
        .size:           8
        .value_kind:     global_buffer
      - .offset:         80
        .size:           4
        .value_kind:     by_value
      - .address_space:  global
        .offset:         88
        .size:           8
        .value_kind:     global_buffer
      - .address_space:  global
        .offset:         96
        .size:           8
        .value_kind:     global_buffer
    .group_segment_fixed_size: 5292
    .kernarg_segment_align: 8
    .kernarg_segment_size: 104
    .language:       OpenCL C
    .language_version:
      - 2
      - 0
    .max_flat_workgroup_size: 189
    .name:           bluestein_single_back_len1323_dim1_half_op_CI_CI
    .private_segment_fixed_size: 0
    .sgpr_count:     25
    .sgpr_spill_count: 0
    .symbol:         bluestein_single_back_len1323_dim1_half_op_CI_CI.kd
    .uniform_work_group_size: 1
    .uses_dynamic_stack: false
    .vgpr_count:     74
    .vgpr_spill_count: 0
    .wavefront_size: 64
amdhsa.target:   amdgcn-amd-amdhsa--gfx906
amdhsa.version:
  - 1
  - 2
...

	.end_amdgpu_metadata
